;; amdgpu-corpus repo=ROCm/rocFFT kind=compiled arch=gfx1201 opt=O3
	.text
	.amdgcn_target "amdgcn-amd-amdhsa--gfx1201"
	.amdhsa_code_object_version 6
	.protected	bluestein_single_back_len1536_dim1_half_op_CI_CI ; -- Begin function bluestein_single_back_len1536_dim1_half_op_CI_CI
	.globl	bluestein_single_back_len1536_dim1_half_op_CI_CI
	.p2align	8
	.type	bluestein_single_back_len1536_dim1_half_op_CI_CI,@function
bluestein_single_back_len1536_dim1_half_op_CI_CI: ; @bluestein_single_back_len1536_dim1_half_op_CI_CI
; %bb.0:
	s_load_b128 s[8:11], s[0:1], 0x28
	s_mov_b32 s2, ttmp9
	s_mov_b32 s3, 0
	s_mov_b32 s5, exec_lo
	s_wait_kmcnt 0x0
	v_cmpx_lt_u64_e64 s[2:3], s[8:9]
	s_cbranch_execz .LBB0_23
; %bb.1:
	s_clause 0x1
	s_load_b64 s[24:25], s[0:1], 0x0
	s_load_b64 s[8:9], s[0:1], 0x38
	v_dual_mov_b32 v22, s3 :: v_dual_mov_b32 v21, s2
	v_cmp_gt_u32_e32 vcc_lo, 0x60, v0
	v_lshlrev_b32_e32 v38, 2, v0
	v_or_b32_e32 v40, 0x180, v0
	v_or_b32_e32 v39, 0x480, v0
	s_and_saveexec_b32 s3, vcc_lo
	s_cbranch_execz .LBB0_3
; %bb.2:
	s_load_b64 s[4:5], s[0:1], 0x18
	v_add_nc_u32_e32 v42, 0x1000, v38
	v_add_nc_u32_e32 v37, 0xc00, v38
	;; [unrolled: 1-line block ×3, first 2 shown]
	s_wait_kmcnt 0x0
	s_load_b128 s[4:7], s[4:5], 0x0
	s_clause 0x7
	global_load_b32 v14, v38, s[24:25]
	global_load_b32 v15, v38, s[24:25] offset:384
	global_load_b32 v16, v38, s[24:25] offset:768
	;; [unrolled: 1-line block ×7, first 2 shown]
	s_wait_kmcnt 0x0
	v_mad_co_u64_u32 v[1:2], null, s6, v21, 0
	v_mad_co_u64_u32 v[3:4], null, s4, v0, 0
	;; [unrolled: 1-line block ×4, first 2 shown]
	s_delay_alu instid0(VALU_DEP_3) | instskip(NEXT) | instid1(VALU_DEP_3)
	v_mad_co_u64_u32 v[9:10], null, s7, v21, v[2:3]
	v_mov_b32_e32 v2, v8
	s_mul_u64 s[6:7], s[4:5], 0x180
	s_delay_alu instid0(VALU_DEP_3) | instskip(NEXT) | instid1(VALU_DEP_4)
	v_mad_co_u64_u32 v[10:11], null, s5, v0, v[4:5]
	v_mad_co_u64_u32 v[11:12], null, s5, v40, v[6:7]
	s_delay_alu instid0(VALU_DEP_3)
	v_mad_co_u64_u32 v[12:13], null, s5, v39, v[2:3]
	v_mov_b32_e32 v2, v9
	s_clause 0x7
	global_load_b32 v9, v38, s[24:25] offset:3072
	global_load_b32 v13, v38, s[24:25] offset:3456
	;; [unrolled: 1-line block ×8, first 2 shown]
	v_mov_b32_e32 v4, v10
	s_mulk_i32 s5, 0x300
	v_mov_b32_e32 v6, v11
	v_lshlrev_b64_e32 v[1:2], 2, v[1:2]
	v_mov_b32_e32 v8, v12
	v_lshlrev_b64_e32 v[3:4], 2, v[3:4]
	s_delay_alu instid0(VALU_DEP_4) | instskip(NEXT) | instid1(VALU_DEP_4)
	v_lshlrev_b64_e32 v[5:6], 2, v[5:6]
	v_add_co_u32 v10, s2, s10, v1
	s_wait_alu 0xf1ff
	v_add_co_ci_u32_e64 v11, s2, s11, v2, s2
	v_lshlrev_b64_e32 v[1:2], 2, v[7:8]
	s_delay_alu instid0(VALU_DEP_3) | instskip(SKIP_1) | instid1(VALU_DEP_3)
	v_add_co_u32 v3, s2, v10, v3
	s_wait_alu 0xf1ff
	v_add_co_ci_u32_e64 v4, s2, v11, v4, s2
	s_delay_alu instid0(VALU_DEP_3)
	v_add_co_u32 v1, s2, v10, v1
	s_wait_alu 0xf1ff
	v_add_co_ci_u32_e64 v2, s2, v11, v2, s2
	s_clause 0x1
	global_load_b32 v7, v[3:4], off
	global_load_b32 v8, v[1:2], off
	s_wait_alu 0xfffe
	v_add_co_u32 v3, s2, v3, s6
	s_wait_alu 0xf1ff
	v_add_co_ci_u32_e64 v4, s2, s7, v4, s2
	s_delay_alu instid0(VALU_DEP_2) | instskip(SKIP_1) | instid1(VALU_DEP_2)
	v_add_co_u32 v1, s2, v3, s6
	s_wait_alu 0xf1ff
	v_add_co_ci_u32_e64 v2, s2, s7, v4, s2
	s_clause 0x1
	global_load_b32 v12, v[3:4], off
	global_load_b32 v29, v[1:2], off
	v_add_co_u32 v3, s2, v1, s6
	s_wait_alu 0xf1ff
	v_add_co_ci_u32_e64 v4, s2, s7, v2, s2
	v_add_co_u32 v5, s2, v10, v5
	s_wait_alu 0xf1ff
	v_add_co_ci_u32_e64 v6, s2, v11, v6, s2
	s_delay_alu instid0(VALU_DEP_3)
	v_mad_co_u64_u32 v[1:2], null, 0x300, s4, v[3:4]
	s_clause 0x1
	global_load_b32 v10, v[3:4], off
	global_load_b32 v11, v[5:6], off
	v_add_nc_u32_e32 v2, s5, v2
	v_add_co_u32 v3, s2, v1, s6
	s_wait_alu 0xf1ff
	s_delay_alu instid0(VALU_DEP_2)
	v_add_co_ci_u32_e64 v4, s2, s7, v2, s2
	global_load_b32 v30, v[1:2], off
	v_add_co_u32 v1, s2, v3, s6
	s_wait_alu 0xf1ff
	v_add_co_ci_u32_e64 v2, s2, s7, v4, s2
	global_load_b32 v31, v[3:4], off
	v_add_co_u32 v3, s2, v1, s6
	s_wait_alu 0xf1ff
	;; [unrolled: 4-line block ×5, first 2 shown]
	v_add_co_ci_u32_e64 v4, s2, s7, v2, s2
	global_load_b32 v35, v[1:2], off
	v_mad_co_u64_u32 v[5:6], null, 0x300, s4, v[3:4]
	global_load_b32 v36, v[3:4], off
	v_add_nc_u32_e32 v6, s5, v6
	v_add_co_u32 v1, s2, v5, s6
	s_wait_alu 0xf1ff
	s_delay_alu instid0(VALU_DEP_2) | instskip(NEXT) | instid1(VALU_DEP_2)
	v_add_co_ci_u32_e64 v2, s2, s7, v6, s2
	v_add_co_u32 v3, s2, v1, s6
	global_load_b32 v5, v[5:6], off
	s_wait_alu 0xf1ff
	v_add_co_ci_u32_e64 v4, s2, s7, v2, s2
	global_load_b32 v1, v[1:2], off
	global_load_b32 v2, v[3:4], off
	v_add_nc_u32_e32 v3, 0x200, v38
	v_add_nc_u32_e32 v4, 0x400, v38
	;; [unrolled: 1-line block ×3, first 2 shown]
	s_wait_loadcnt 0x1f
	v_lshrrev_b32_e32 v43, 16, v14
	s_wait_loadcnt 0x1e
	v_lshrrev_b32_e32 v44, 16, v15
	s_wait_loadcnt 0x1d
	v_lshrrev_b32_e32 v45, 16, v16
	s_wait_loadcnt 0x1c
	v_lshrrev_b32_e32 v46, 16, v17
	s_wait_loadcnt 0x1b
	v_lshrrev_b32_e32 v47, 16, v18
	s_wait_loadcnt 0x1a
	v_lshrrev_b32_e32 v48, 16, v19
	s_wait_loadcnt 0x19
	v_lshrrev_b32_e32 v49, 16, v20
	s_wait_loadcnt 0x18
	v_lshrrev_b32_e32 v50, 16, v22
	s_wait_loadcnt 0x17
	v_lshrrev_b32_e32 v51, 16, v9
	s_wait_loadcnt 0x16
	v_lshrrev_b32_e32 v52, 16, v13
	s_wait_loadcnt 0x15
	v_lshrrev_b32_e32 v53, 16, v23
	s_wait_loadcnt 0x14
	v_lshrrev_b32_e32 v54, 16, v24
	s_wait_loadcnt 0x13
	v_lshrrev_b32_e32 v55, 16, v25
	s_wait_loadcnt 0x12
	v_lshrrev_b32_e32 v56, 16, v26
	s_wait_loadcnt 0x11
	v_lshrrev_b32_e32 v57, 16, v27
	s_wait_loadcnt 0x10
	v_lshrrev_b32_e32 v60, 16, v28
	s_wait_loadcnt 0xf
	v_lshrrev_b32_e32 v58, 16, v7
	v_mul_f16_e32 v59, v43, v7
	s_wait_loadcnt 0xe
	v_lshrrev_b32_e32 v61, 16, v8
	v_mul_f16_e32 v62, v55, v8
	v_mul_f16_e32 v43, v43, v58
	v_fma_f16 v58, v14, v58, -v59
	s_delay_alu instid0(VALU_DEP_4) | instskip(NEXT) | instid1(VALU_DEP_4)
	v_mul_f16_e32 v55, v55, v61
	v_fma_f16 v61, v25, v61, -v62
	s_delay_alu instid0(VALU_DEP_4)
	v_fmac_f16_e32 v43, v14, v7
	s_wait_loadcnt 0xd
	v_lshrrev_b32_e32 v59, 16, v12
	v_mul_f16_e32 v63, v44, v12
	v_fmac_f16_e32 v55, v25, v8
	v_pack_b32_f16 v8, v43, v58
	s_delay_alu instid0(VALU_DEP_4) | instskip(NEXT) | instid1(VALU_DEP_4)
	v_mul_f16_e32 v7, v44, v59
	v_fma_f16 v14, v15, v59, -v63
	s_wait_loadcnt 0xc
	v_lshrrev_b32_e32 v44, 16, v29
	v_mul_f16_e32 v59, v45, v29
	v_pack_b32_f16 v55, v55, v61
	v_fmac_f16_e32 v7, v15, v12
	s_delay_alu instid0(VALU_DEP_4)
	v_mul_f16_e32 v12, v45, v44
	s_wait_loadcnt 0xb
	v_lshrrev_b32_e32 v25, 16, v10
	v_fma_f16 v15, v16, v44, -v59
	v_mul_f16_e32 v43, v46, v10
	s_wait_loadcnt 0xa
	v_lshrrev_b32_e32 v44, 16, v11
	v_pack_b32_f16 v7, v7, v14
	v_mul_f16_e32 v14, v46, v25
	v_fmac_f16_e32 v12, v16, v29
	v_fma_f16 v25, v17, v25, -v43
	v_mul_f16_e32 v16, v47, v44
	ds_store_2addr_b32 v38, v8, v7 offset1:96
	v_fmac_f16_e32 v14, v17, v10
	v_mul_f16_e32 v45, v47, v11
	v_pack_b32_f16 v8, v12, v15
	v_fmac_f16_e32 v16, v18, v11
	s_wait_loadcnt 0x9
	v_lshrrev_b32_e32 v7, 16, v30
	v_mul_f16_e32 v10, v48, v30
	v_pack_b32_f16 v11, v14, v25
	v_fma_f16 v29, v18, v44, -v45
	s_delay_alu instid0(VALU_DEP_4)
	v_mul_f16_e32 v14, v48, v7
	s_wait_loadcnt 0x8
	v_lshrrev_b32_e32 v15, 16, v31
	v_fma_f16 v7, v19, v7, -v10
	v_mul_f16_e32 v10, v49, v31
	ds_store_2addr_b32 v3, v8, v11 offset0:64 offset1:160
	v_fmac_f16_e32 v14, v19, v30
	v_mul_f16_e32 v3, v49, v15
	s_wait_loadcnt 0x7
	v_lshrrev_b32_e32 v8, 16, v32
	v_mul_f16_e32 v11, v50, v32
	v_pack_b32_f16 v12, v16, v29
	v_fma_f16 v10, v20, v15, -v10
	v_pack_b32_f16 v7, v14, v7
	v_fmac_f16_e32 v3, v20, v31
	v_mul_f16_e32 v14, v50, v8
	v_fma_f16 v8, v22, v8, -v11
	s_wait_loadcnt 0x6
	v_lshrrev_b32_e32 v11, 16, v33
	v_mul_f16_e32 v15, v51, v33
	ds_store_2addr_b32 v4, v12, v7 offset0:128 offset1:224
	v_pack_b32_f16 v3, v3, v10
	s_wait_loadcnt 0x5
	v_lshrrev_b32_e32 v7, 16, v34
	v_mul_f16_e32 v4, v51, v11
	v_mul_f16_e32 v10, v52, v34
	v_fma_f16 v11, v9, v11, -v15
	s_wait_loadcnt 0x4
	v_mul_f16_e32 v12, v53, v35
	v_fmac_f16_e32 v14, v22, v32
	v_fmac_f16_e32 v4, v9, v33
	v_mul_f16_e32 v9, v52, v7
	v_fma_f16 v7, v13, v7, -v10
	v_lshrrev_b32_e32 v10, 16, v35
	v_pack_b32_f16 v8, v14, v8
	v_pack_b32_f16 v4, v4, v11
	v_fmac_f16_e32 v9, v13, v34
	s_wait_loadcnt 0x3
	v_lshrrev_b32_e32 v11, 16, v36
	v_mul_f16_e32 v13, v53, v10
	v_fma_f16 v10, v23, v10, -v12
	v_mul_f16_e32 v12, v54, v36
	v_pack_b32_f16 v7, v9, v7
	v_mul_f16_e32 v9, v54, v11
	v_fmac_f16_e32 v13, v23, v35
	s_wait_loadcnt 0x2
	v_lshrrev_b32_e32 v14, 16, v5
	v_fma_f16 v11, v24, v11, -v12
	v_mul_f16_e32 v12, v56, v5
	v_fmac_f16_e32 v9, v24, v36
	s_wait_loadcnt 0x1
	v_lshrrev_b32_e32 v15, 16, v1
	s_wait_loadcnt 0x0
	v_lshrrev_b32_e32 v17, 16, v2
	v_mul_f16_e32 v16, v56, v14
	v_fma_f16 v12, v26, v14, -v12
	v_mul_f16_e32 v14, v57, v1
	v_mul_f16_e32 v18, v57, v15
	;; [unrolled: 1-line block ×4, first 2 shown]
	v_fmac_f16_e32 v16, v26, v5
	v_fma_f16 v5, v27, v15, -v14
	v_fmac_f16_e32 v18, v27, v1
	v_fma_f16 v1, v28, v17, -v19
	v_fmac_f16_e32 v20, v28, v2
	v_pack_b32_f16 v2, v13, v10
	v_pack_b32_f16 v9, v9, v11
	;; [unrolled: 1-line block ×5, first 2 shown]
	v_add_nc_u32_e32 v11, 0x1400, v38
	ds_store_2addr_b32 v6, v3, v8 offset0:64 offset1:160
	ds_store_2addr_b32 v37, v4, v7 offset1:96
	ds_store_2addr_b32 v41, v2, v9 offset0:64 offset1:160
	ds_store_2addr_b32 v42, v55, v10 offset0:128 offset1:224
	;; [unrolled: 1-line block ×3, first 2 shown]
.LBB0_3:
	s_wait_alu 0xfffe
	s_or_b32 exec_lo, exec_lo, s3
	global_wb scope:SCOPE_SE
	s_wait_dscnt 0x0
	s_wait_kmcnt 0x0
	s_barrier_signal -1
	s_barrier_wait -1
	global_inv scope:SCOPE_SE
                                        ; implicit-def: $vgpr1
                                        ; implicit-def: $vgpr15
                                        ; implicit-def: $vgpr5
                                        ; implicit-def: $vgpr10
                                        ; implicit-def: $vgpr3
                                        ; implicit-def: $vgpr14
                                        ; implicit-def: $vgpr7
                                        ; implicit-def: $vgpr12
                                        ; implicit-def: $vgpr16
	s_and_saveexec_b32 s2, vcc_lo
	s_cbranch_execz .LBB0_5
; %bb.4:
	v_add_nc_u32_e32 v3, 0x200, v38
	v_add_nc_u32_e32 v5, 0x400, v38
	;; [unrolled: 1-line block ×6, first 2 shown]
	ds_load_2addr_b32 v[1:2], v38 offset1:96
	ds_load_2addr_b32 v[3:4], v3 offset0:64 offset1:160
	ds_load_2addr_b32 v[5:6], v5 offset0:128 offset1:224
	;; [unrolled: 1-line block ×6, first 2 shown]
	ds_load_b32 v15, v38 offset:3072
	ds_load_b32 v16, v38 offset:5760
.LBB0_5:
	s_wait_alu 0xfffe
	s_or_b32 exec_lo, exec_lo, s2
	s_wait_dscnt 0x3
	v_pk_add_f16 v10, v5, v10 neg_lo:[0,1] neg_hi:[0,1]
	s_wait_dscnt 0x2
	v_pk_add_f16 v12, v7, v12 neg_lo:[0,1] neg_hi:[0,1]
	v_pk_add_f16 v13, v2, v13 neg_lo:[0,1] neg_hi:[0,1]
	;; [unrolled: 1-line block ×4, first 2 shown]
	s_wait_dscnt 0x0
	v_pk_add_f16 v16, v8, v16 neg_lo:[0,1] neg_hi:[0,1]
	v_pk_add_f16 v15, v1, v15 neg_lo:[0,1] neg_hi:[0,1]
	;; [unrolled: 1-line block ×3, first 2 shown]
	v_lshrrev_b32_e32 v17, 16, v10
	v_lshrrev_b32_e32 v19, 16, v12
	;; [unrolled: 1-line block ×7, first 2 shown]
	v_sub_f16_e32 v17, v15, v17
	v_lshrrev_b32_e32 v22, 16, v14
	v_sub_f16_e32 v19, v14, v19
	v_sub_f16_e32 v24, v13, v24
	v_add_f16_e32 v30, v11, v27
	v_sub_f16_e32 v28, v9, v28
	v_add_f16_e32 v32, v16, v29
	v_pk_fma_f16 v1, v1, 2.0, v15 op_sel_hi:[1,0,1] neg_lo:[0,0,1] neg_hi:[0,0,1]
	v_pk_fma_f16 v5, v5, 2.0, v10 op_sel_hi:[1,0,1] neg_lo:[0,0,1] neg_hi:[0,0,1]
	;; [unrolled: 1-line block ×8, first 2 shown]
	v_add_f16_e32 v20, v10, v18
	v_fma_f16 v23, v15, 2.0, -v17
	v_add_f16_e32 v25, v12, v22
	v_fma_f16 v26, v14, 2.0, -v19
	v_fma_f16 v31, v13, 2.0, -v24
	;; [unrolled: 1-line block ×5, first 2 shown]
	v_pk_add_f16 v5, v1, v5 neg_lo:[0,1] neg_hi:[0,1]
	v_pk_add_f16 v7, v3, v7 neg_lo:[0,1] neg_hi:[0,1]
	v_pk_add_f16 v6, v2, v6 neg_lo:[0,1] neg_hi:[0,1]
	v_pk_add_f16 v8, v4, v8 neg_lo:[0,1] neg_hi:[0,1]
	v_fma_f16 v18, v18, 2.0, -v20
	v_fma_f16 v22, v22, 2.0, -v25
	v_fmamk_f16 v33, v26, 0xb9a8, v23
	v_fmamk_f16 v42, v35, 0xb9a8, v31
	;; [unrolled: 1-line block ×3, first 2 shown]
	v_pk_fma_f16 v1, v1, 2.0, v5 op_sel_hi:[1,0,1] neg_lo:[0,0,1] neg_hi:[0,0,1]
	v_pk_fma_f16 v3, v3, 2.0, v7 op_sel_hi:[1,0,1] neg_lo:[0,0,1] neg_hi:[0,0,1]
	v_pk_fma_f16 v2, v2, 2.0, v6 op_sel_hi:[1,0,1] neg_lo:[0,0,1] neg_hi:[0,0,1]
	v_lshrrev_b32_e32 v11, 16, v7
	v_pk_fma_f16 v4, v4, 2.0, v8 op_sel_hi:[1,0,1] neg_lo:[0,0,1] neg_hi:[0,0,1]
	v_lshrrev_b32_e32 v13, 16, v8
	v_fmamk_f16 v34, v22, 0xb9a8, v18
	v_fmac_f16_e32 v33, 0xb9a8, v22
	v_fmamk_f16 v22, v19, 0x39a8, v17
	v_fmamk_f16 v41, v25, 0x39a8, v20
	v_fmac_f16_e32 v42, 0xb9a8, v29
	v_fmac_f16_e32 v43, 0x39a8, v35
	v_fmamk_f16 v35, v28, 0x39a8, v24
	v_fmamk_f16 v44, v32, 0x39a8, v30
	v_pk_add_f16 v3, v1, v3 neg_lo:[0,1] neg_hi:[0,1]
	v_lshrrev_b32_e32 v12, 16, v5
	v_sub_f16_e32 v11, v5, v11
	v_pk_add_f16 v4, v2, v4 neg_lo:[0,1] neg_hi:[0,1]
	v_lshrrev_b32_e32 v14, 16, v6
	v_sub_f16_e32 v15, v6, v13
	v_fmac_f16_e32 v34, 0x39a8, v26
	v_fma_f16 v23, v23, 2.0, -v33
	v_fmac_f16_e32 v22, 0xb9a8, v25
	v_fmac_f16_e32 v41, 0x39a8, v19
	v_fma_f16 v26, v31, 2.0, -v42
	v_fmac_f16_e32 v35, 0xb9a8, v32
	v_fmac_f16_e32 v44, 0x39a8, v28
	v_pk_fma_f16 v1, v1, 2.0, v3 op_sel_hi:[1,0,1] neg_lo:[0,0,1] neg_hi:[0,0,1]
	v_add_f16_e32 v7, v7, v12
	v_fma_f16 v5, v5, 2.0, -v11
	v_pk_fma_f16 v2, v2, 2.0, v4 op_sel_hi:[1,0,1] neg_lo:[0,0,1] neg_hi:[0,0,1]
	v_add_f16_e32 v8, v8, v14
	v_fma_f16 v6, v6, 2.0, -v15
	v_fma_f16 v18, v18, 2.0, -v34
	;; [unrolled: 1-line block ×8, first 2 shown]
	v_fmamk_f16 v24, v26, 0xbb64, v23
	v_pk_add_f16 v13, v1, v2 neg_lo:[0,1] neg_hi:[0,1]
	v_fma_f16 v2, v14, 2.0, -v8
	v_fmamk_f16 v25, v6, 0xb9a8, v5
	v_fmamk_f16 v36, v17, 0xbb64, v18
	v_fmac_f16_e32 v24, 0xb61f, v17
	v_pk_fma_f16 v17, v1, 2.0, v13 op_sel_hi:[1,0,1] neg_lo:[0,0,1] neg_hi:[0,0,1]
	v_fmamk_f16 v37, v2, 0xb9a8, v12
	v_fmac_f16_e32 v25, 0xb9a8, v2
	v_fmamk_f16 v28, v9, 0xb61f, v19
	v_fmamk_f16 v58, v10, 0xb61f, v20
	v_lshrrev_b32_e32 v1, 16, v4
	v_lshrrev_b32_e32 v2, 16, v3
	v_fmamk_f16 v30, v42, 0x361f, v33
	v_fmamk_f16 v61, v43, 0x361f, v34
	;; [unrolled: 1-line block ×6, first 2 shown]
	v_fmac_f16_e32 v36, 0x361f, v26
	v_fmac_f16_e32 v37, 0x39a8, v6
	;; [unrolled: 1-line block ×4, first 2 shown]
	v_sub_f16_e32 v29, v3, v1
	v_add_f16_e32 v60, v4, v2
	v_fmac_f16_e32 v30, 0xbb64, v43
	v_fmac_f16_e32 v61, 0x3b64, v42
	;; [unrolled: 1-line block ×6, first 2 shown]
	v_fma_f16 v23, v23, 2.0, -v24
	v_fma_f16 v59, v18, 2.0, -v36
	;; [unrolled: 1-line block ×14, first 2 shown]
	v_lshlrev_b32_e32 v45, 6, v0
	global_wb scope:SCOPE_SE
	s_barrier_signal -1
	s_barrier_wait -1
	global_inv scope:SCOPE_SE
	s_and_saveexec_b32 s2, vcc_lo
	s_cbranch_execz .LBB0_7
; %bb.6:
	v_perm_b32 v20, v65, v27, 0x5040100
	v_perm_b32 v19, v62, v26, 0x5040100
	;; [unrolled: 1-line block ×14, first 2 shown]
	ds_store_b128 v45, v[17:20]
	ds_store_b128 v45, v[1:4] offset:16
	ds_store_b128 v45, v[13:16] offset:32
	ds_store_b128 v45, v[5:8] offset:48
.LBB0_7:
	s_wait_alu 0xfffe
	s_or_b32 exec_lo, exec_lo, s2
	s_clause 0x1
	s_load_b64 s[2:3], s[0:1], 0x20
	s_load_b64 s[0:1], s[0:1], 0x8
	global_wb scope:SCOPE_SE
	s_wait_dscnt 0x0
	s_wait_kmcnt 0x0
	s_barrier_signal -1
	s_barrier_wait -1
	global_inv scope:SCOPE_SE
	s_and_saveexec_b32 s4, vcc_lo
	s_cbranch_execz .LBB0_9
; %bb.8:
	ds_load_2addr_b32 v[22:23], v38 offset1:96
	v_add_nc_u32_e32 v1, 0x200, v38
	v_add_nc_u32_e32 v2, 0x400, v38
	;; [unrolled: 1-line block ×3, first 2 shown]
	ds_load_2addr_b32 v[26:27], v1 offset0:64 offset1:160
	v_add_nc_u32_e32 v1, 0xc00, v38
	ds_load_2addr_b32 v[34:35], v3 offset0:64 offset1:160
	v_add_nc_u32_e32 v3, 0x1200, v38
	s_wait_dscnt 0x2
	v_mov_b32_e32 v17, v22
	ds_load_2addr_b32 v[32:33], v2 offset0:128 offset1:224
	v_add_nc_u32_e32 v2, 0x1000, v38
	v_lshrrev_b32_e32 v59, 16, v23
	ds_load_2addr_b32 v[24:25], v1 offset0:96 offset1:192
	ds_load_2addr_b32 v[28:29], v2 offset0:32 offset1:128
	;; [unrolled: 1-line block ×3, first 2 shown]
	ds_load_b32 v63, v38 offset:5760
	ds_load_b32 v13, v38 offset:3072
	s_wait_dscnt 0x7
	v_lshrrev_b32_e32 v62, 16, v26
	v_lshrrev_b32_e32 v65, 16, v27
	s_wait_dscnt 0x6
	v_lshrrev_b32_e32 v69, 16, v34
	v_lshrrev_b32_e32 v70, 16, v35
	;; [unrolled: 3-line block ×6, first 2 shown]
	s_wait_dscnt 0x1
	v_lshrrev_b32_e32 v67, 16, v63
.LBB0_9:
	s_wait_alu 0xfffe
	s_or_b32 exec_lo, exec_lo, s4
	v_and_b32_e32 v41, 15, v0
	s_delay_alu instid0(VALU_DEP_1)
	v_mad_co_u64_u32 v[14:15], null, v41, 60, s[0:1]
	s_clause 0x3
	global_load_b128 v[1:4], v[14:15], off
	global_load_b128 v[5:8], v[14:15], off offset:16
	global_load_b128 v[9:12], v[14:15], off offset:32
	global_load_b96 v[18:20], v[14:15], off offset:48
	s_wait_dscnt 0x0
	v_lshrrev_b32_e32 v14, 16, v13
	v_lshrrev_b32_e32 v15, 16, v17
	global_wb scope:SCOPE_SE
	s_wait_loadcnt 0x0
	s_barrier_signal -1
	s_barrier_wait -1
	global_inv scope:SCOPE_SE
	v_lshrrev_b32_e32 v46, 16, v1
	v_lshrrev_b32_e32 v54, 16, v2
	;; [unrolled: 1-line block ×15, first 2 shown]
	v_mul_f16_e32 v16, v59, v46
	v_mul_f16_e32 v22, v23, v46
	;; [unrolled: 1-line block ×30, first 2 shown]
	v_fma_f16 v16, v23, v1, -v16
	v_fma_f16 v23, v26, v2, -v71
	;; [unrolled: 1-line block ×5, first 2 shown]
	v_fmac_f16_e32 v22, v59, v1
	v_fmac_f16_e32 v72, v62, v2
	;; [unrolled: 1-line block ×5, first 2 shown]
	v_fma_f16 v33, v34, v6, -v79
	v_fmac_f16_e32 v80, v69, v6
	v_fma_f16 v34, v35, v7, -v81
	v_fmac_f16_e32 v82, v70, v7
	;; [unrolled: 2-line block ×10, first 2 shown]
	v_sub_f16_e32 v13, v17, v13
	v_sub_f16_e32 v35, v15, v84
	;; [unrolled: 1-line block ×16, first 2 shown]
	v_fma_f16 v17, v17, 2.0, -v13
	v_fma_f16 v15, v15, 2.0, -v35
	;; [unrolled: 1-line block ×16, first 2 shown]
	v_sub_f16_e32 v36, v13, v36
	v_add_f16_e32 v28, v35, v28
	v_sub_f16_e32 v58, v24, v58
	v_add_f16_e32 v30, v37, v30
	;; [unrolled: 2-line block ×4, first 2 shown]
	v_sub_f16_e32 v27, v17, v27
	v_sub_f16_e32 v63, v15, v63
	v_fma_f16 v69, v13, 2.0, -v36
	v_fma_f16 v70, v35, 2.0, -v28
	v_sub_f16_e32 v33, v23, v33
	v_sub_f16_e32 v35, v64, v65
	v_fma_f16 v24, v24, 2.0, -v58
	v_fma_f16 v37, v37, 2.0, -v30
	;; [unrolled: 4-line block ×4, first 2 shown]
	v_fmamk_f16 v74, v30, 0x39a8, v28
	v_fmamk_f16 v61, v58, 0x39a8, v36
	;; [unrolled: 1-line block ×4, first 2 shown]
	v_fma_f16 v17, v17, 2.0, -v27
	v_fma_f16 v68, v15, 2.0, -v63
	;; [unrolled: 1-line block ×8, first 2 shown]
	v_fmamk_f16 v13, v24, 0xb9a8, v69
	v_fmamk_f16 v14, v37, 0xb9a8, v70
	v_fmac_f16_e32 v74, 0x39a8, v58
	v_fmamk_f16 v79, v25, 0xb9a8, v71
	v_fmamk_f16 v80, v59, 0xb9a8, v72
	v_sub_f16_e32 v67, v27, v35
	v_add_f16_e32 v78, v63, v33
	v_fmac_f16_e32 v61, 0xb9a8, v30
	v_sub_f16_e32 v30, v65, v34
	v_add_f16_e32 v81, v66, v32
	v_fmac_f16_e32 v73, 0xb9a8, v31
	v_fmac_f16_e32 v75, 0x39a8, v62
	v_sub_f16_e32 v32, v17, v15
	v_sub_f16_e32 v33, v68, v23
	v_fmac_f16_e32 v13, 0xb9a8, v37
	v_fmac_f16_e32 v14, 0x39a8, v24
	v_fma_f16 v16, v28, 2.0, -v74
	v_sub_f16_e32 v24, v76, v22
	v_sub_f16_e32 v28, v77, v26
	v_fmac_f16_e32 v79, 0xb9a8, v59
	v_fmac_f16_e32 v80, 0x39a8, v25
	v_fma_f16 v34, v27, 2.0, -v67
	v_fma_f16 v15, v63, 2.0, -v78
	;; [unrolled: 1-line block ×7, first 2 shown]
	v_fmamk_f16 v22, v30, 0x39a8, v67
	v_fmamk_f16 v66, v81, 0x39a8, v78
	;; [unrolled: 1-line block ×4, first 2 shown]
	v_fma_f16 v58, v17, 2.0, -v32
	v_fma_f16 v36, v68, 2.0, -v33
	;; [unrolled: 1-line block ×8, first 2 shown]
	v_fmamk_f16 v26, v25, 0xb9a8, v34
	v_fmamk_f16 v69, v62, 0xb9a8, v15
	;; [unrolled: 1-line block ×6, first 2 shown]
	v_fmac_f16_e32 v22, 0xb9a8, v81
	v_fmac_f16_e32 v66, 0x39a8, v30
	;; [unrolled: 1-line block ×4, first 2 shown]
	v_sub_f16_e32 v73, v36, v31
	v_fmamk_f16 v31, v76, 0xbb64, v59
	v_fmamk_f16 v70, v77, 0xbb64, v37
	v_sub_f16_e32 v28, v32, v28
	v_add_f16_e32 v72, v33, v24
	v_sub_f16_e32 v30, v58, v17
	v_fmac_f16_e32 v26, 0xb9a8, v62
	v_fmac_f16_e32 v69, 0x39a8, v25
	;; [unrolled: 1-line block ×6, first 2 shown]
	v_fma_f16 v24, v67, 2.0, -v22
	v_fma_f16 v71, v78, 2.0, -v66
	;; [unrolled: 1-line block ×4, first 2 shown]
	v_fmac_f16_e32 v31, 0xb61f, v77
	v_fmac_f16_e32 v70, 0x361f, v76
	v_lshlrev_b32_e32 v17, 4, v0
	s_and_saveexec_b32 s4, vcc_lo
	s_cbranch_execz .LBB0_11
; %bb.10:
	v_fma_f16 v59, v59, 2.0, -v31
	v_fma_f16 v58, v58, 2.0, -v30
	v_and_or_b32 v60, 0x700, v17, v41
	v_fma_f16 v36, v36, 2.0, -v73
	v_fma_f16 v37, v37, 2.0, -v70
	;; [unrolled: 1-line block ×10, first 2 shown]
	v_lshlrev_b32_e32 v60, 2, v60
	v_pack_b32_f16 v36, v58, v36
	v_pack_b32_f16 v37, v59, v37
	v_pack_b32_f16 v15, v34, v15
	v_pack_b32_f16 v16, v35, v16
	v_pack_b32_f16 v32, v32, v33
	v_pack_b32_f16 v13, v13, v14
	ds_store_2addr_b32 v60, v36, v37 offset1:16
	ds_store_2addr_b32 v60, v15, v16 offset0:32 offset1:48
	ds_store_2addr_b32 v60, v32, v13 offset0:64 offset1:80
	v_perm_b32 v13, v71, v24, 0x5040100
	v_perm_b32 v14, v67, v25, 0x5040100
	;; [unrolled: 1-line block ×10, first 2 shown]
	ds_store_2addr_b32 v60, v13, v14 offset0:96 offset1:112
	ds_store_2addr_b32 v60, v15, v16 offset0:128 offset1:144
	;; [unrolled: 1-line block ×5, first 2 shown]
.LBB0_11:
	s_wait_alu 0xfffe
	s_or_b32 exec_lo, exec_lo, s4
	v_mad_co_u64_u32 v[32:33], null, v0, 20, s[0:1]
	s_load_b128 s[20:23], s[2:3], 0x0
	global_wb scope:SCOPE_SE
	s_wait_dscnt 0x0
	s_wait_kmcnt 0x0
	s_barrier_signal -1
	s_barrier_wait -1
	global_inv scope:SCOPE_SE
	s_clause 0x1
	global_load_b128 v[13:16], v[32:33], off offset:960
	global_load_b32 v58, v[32:33], off offset:976
	ds_load_2addr_stride64_b32 v[76:77], v38 offset1:4
	ds_load_2addr_stride64_b32 v[32:33], v38 offset0:8 offset1:12
	ds_load_2addr_stride64_b32 v[34:35], v38 offset0:16 offset1:20
	s_wait_dscnt 0x2
	v_lshrrev_b32_e32 v36, 16, v77
	s_wait_dscnt 0x1
	v_lshrrev_b32_e32 v74, 16, v33
	;; [unrolled: 2-line block ×3, first 2 shown]
	v_lshrrev_b32_e32 v37, 16, v32
	v_lshrrev_b32_e32 v75, 16, v34
	;; [unrolled: 1-line block ×3, first 2 shown]
	s_wait_loadcnt 0x1
	v_lshrrev_b32_e32 v63, 16, v13
	v_lshrrev_b32_e32 v62, 16, v14
	v_lshrrev_b32_e32 v61, 16, v15
	v_lshrrev_b32_e32 v60, 16, v16
	s_wait_loadcnt 0x0
	v_lshrrev_b32_e32 v59, 16, v58
	v_mul_f16_e32 v81, v77, v63
	v_mul_f16_e32 v83, v32, v62
	;; [unrolled: 1-line block ×9, first 2 shown]
	v_fmac_f16_e32 v81, v36, v13
	v_fmac_f16_e32 v83, v37, v14
	v_fma_f16 v33, v33, v15, -v84
	v_fmac_f16_e32 v85, v74, v15
	v_fmac_f16_e32 v87, v75, v16
	v_fma_f16 v35, v35, v58, -v88
	v_fmac_f16_e32 v89, v78, v58
	v_mul_f16_e32 v86, v75, v60
	v_fma_f16 v77, v77, v13, -v79
	v_fma_f16 v32, v32, v14, -v82
	v_sub_f16_e32 v74, v83, v87
	v_add_f16_e32 v75, v80, v83
	v_add_f16_e32 v78, v83, v87
	;; [unrolled: 1-line block ×3, first 2 shown]
	v_sub_f16_e32 v83, v85, v89
	v_add_f16_e32 v84, v81, v85
	v_add_f16_e32 v85, v85, v89
	v_fma_f16 v34, v34, v16, -v86
	v_add_f16_e32 v79, v77, v33
	v_sub_f16_e32 v33, v33, v35
	v_fmac_f16_e32 v77, -0.5, v82
	v_fmac_f16_e32 v81, -0.5, v85
	v_add_f16_e32 v37, v32, v34
	v_fmac_f16_e32 v80, -0.5, v78
	v_add_f16_e32 v36, v76, v32
	v_fmamk_f16 v78, v83, 0x3aee, v77
	v_fmac_f16_e32 v77, 0xbaee, v83
	v_fmamk_f16 v83, v33, 0xbaee, v81
	v_fmac_f16_e32 v81, 0x3aee, v33
	v_sub_f16_e32 v32, v32, v34
	v_fmac_f16_e32 v76, -0.5, v37
	v_add_f16_e32 v37, v84, v89
	v_mul_f16_e32 v84, 0x3aee, v83
	v_mul_f16_e32 v86, 0xbaee, v78
	v_add_f16_e32 v34, v36, v34
	v_add_f16_e32 v36, v75, v87
	v_mul_f16_e32 v85, -0.5, v77
	v_mul_f16_e32 v87, -0.5, v81
	v_add_f16_e32 v35, v79, v35
	v_fmamk_f16 v79, v74, 0x3aee, v76
	v_fmamk_f16 v82, v32, 0xbaee, v80
	v_fmac_f16_e32 v84, 0.5, v78
	v_fmac_f16_e32 v86, 0.5, v83
	v_fmac_f16_e32 v76, 0xbaee, v74
	v_fmac_f16_e32 v80, 0x3aee, v32
	;; [unrolled: 1-line block ×4, first 2 shown]
	v_add_f16_e32 v32, v34, v35
	v_add_f16_e32 v75, v36, v37
	;; [unrolled: 1-line block ×4, first 2 shown]
	v_sub_f16_e32 v35, v34, v35
	v_sub_f16_e32 v74, v36, v37
	v_add_f16_e32 v34, v76, v85
	v_add_f16_e32 v78, v80, v87
	v_sub_f16_e32 v36, v79, v84
	v_sub_f16_e32 v37, v76, v85
	;; [unrolled: 1-line block ×4, first 2 shown]
	v_pack_b32_f16 v81, v32, v75
	v_pack_b32_f16 v82, v33, v77
	;; [unrolled: 1-line block ×6, first 2 shown]
	ds_store_2addr_stride64_b32 v38, v81, v82 offset1:4
	ds_store_2addr_stride64_b32 v38, v83, v80 offset0:8 offset1:12
	ds_store_2addr_stride64_b32 v38, v84, v85 offset0:16 offset1:20
	global_wb scope:SCOPE_SE
	s_wait_dscnt 0x0
	s_barrier_signal -1
	s_barrier_wait -1
	global_inv scope:SCOPE_SE
	s_and_saveexec_b32 s2, vcc_lo
	s_cbranch_execz .LBB0_13
; %bb.12:
	s_add_nc_u64 s[0:1], s[24:25], 0x1800
	s_clause 0xf
	global_load_b32 v96, v38, s[24:25] offset:6144
	global_load_b32 v97, v38, s[0:1] offset:384
	;; [unrolled: 1-line block ×16, first 2 shown]
	v_add_nc_u32_e32 v112, 0x200, v38
	v_add_nc_u32_e32 v113, 0x400, v38
	;; [unrolled: 1-line block ×4, first 2 shown]
	ds_load_2addr_b32 v[80:81], v38 offset1:96
	v_add_nc_u32_e32 v116, 0xe00, v38
	ds_load_2addr_b32 v[82:83], v112 offset0:64 offset1:160
	v_add_nc_u32_e32 v117, 0x1000, v38
	ds_load_2addr_b32 v[84:85], v113 offset0:128 offset1:224
	;; [unrolled: 2-line block ×3, first 2 shown]
	ds_load_2addr_b32 v[88:89], v115 offset1:96
	ds_load_2addr_b32 v[90:91], v116 offset0:64 offset1:160
	ds_load_2addr_b32 v[92:93], v117 offset0:128 offset1:224
	;; [unrolled: 1-line block ×3, first 2 shown]
	s_wait_dscnt 0x7
	v_lshrrev_b32_e32 v119, 16, v80
	v_lshrrev_b32_e32 v120, 16, v81
	s_wait_dscnt 0x6
	v_lshrrev_b32_e32 v121, 16, v82
	v_lshrrev_b32_e32 v122, 16, v83
	;; [unrolled: 3-line block ×8, first 2 shown]
	s_wait_loadcnt 0xf
	v_lshrrev_b32_e32 v135, 16, v96
	s_wait_loadcnt 0xe
	v_lshrrev_b32_e32 v136, 16, v97
	;; [unrolled: 2-line block ×16, first 2 shown]
	v_mul_f16_e64 v151, v119, v135
	v_mul_f16_e64 v135, v80, v135
	;; [unrolled: 1-line block ×32, first 2 shown]
	v_fma_f16 v80, v80, v96, -v151
	v_fmac_f16_e64 v135, v119, v96
	v_fma_f16 v81, v81, v97, -v152
	v_fmac_f16_e64 v136, v120, v97
	;; [unrolled: 2-line block ×16, first 2 shown]
	v_pack_b32_f16 v80, v80, v135
	v_pack_b32_f16 v81, v81, v136
	;; [unrolled: 1-line block ×16, first 2 shown]
	ds_store_2addr_b32 v38, v80, v81 offset1:96
	ds_store_2addr_b32 v112, v82, v83 offset0:64 offset1:160
	ds_store_2addr_b32 v113, v84, v85 offset0:128 offset1:224
	ds_store_2addr_b32 v114, v86, v87 offset0:64 offset1:160
	ds_store_2addr_b32 v115, v88, v89 offset1:96
	ds_store_2addr_b32 v116, v90, v91 offset0:64 offset1:160
	ds_store_2addr_b32 v117, v92, v93 offset0:128 offset1:224
	;; [unrolled: 1-line block ×3, first 2 shown]
.LBB0_13:
	s_wait_alu 0xfffe
	s_or_b32 exec_lo, exec_lo, s2
	global_wb scope:SCOPE_SE
	s_wait_dscnt 0x0
	s_barrier_signal -1
	s_barrier_wait -1
	global_inv scope:SCOPE_SE
	s_and_saveexec_b32 s0, vcc_lo
	s_cbranch_execz .LBB0_15
; %bb.14:
	v_add_nc_u32_e32 v22, 0x200, v38
	v_add_nc_u32_e32 v23, 0x400, v38
	;; [unrolled: 1-line block ×4, first 2 shown]
	ds_load_2addr_b32 v[32:33], v38 offset1:96
	ds_load_2addr_b32 v[34:35], v22 offset0:64 offset1:160
	v_add_nc_u32_e32 v22, 0xc00, v38
	ds_load_2addr_b32 v[36:37], v23 offset0:128 offset1:224
	v_add_nc_u32_e32 v23, 0xe00, v38
	ds_load_2addr_b32 v[24:25], v24 offset0:64 offset1:160
	ds_load_2addr_b32 v[30:31], v22 offset1:96
	v_add_nc_u32_e32 v22, 0x1400, v38
	ds_load_2addr_b32 v[26:27], v23 offset0:64 offset1:160
	ds_load_2addr_b32 v[28:29], v28 offset0:128 offset1:224
	;; [unrolled: 1-line block ×3, first 2 shown]
	s_wait_dscnt 0x7
	v_lshrrev_b32_e32 v75, 16, v32
	v_lshrrev_b32_e32 v77, 16, v33
	s_wait_dscnt 0x6
	v_lshrrev_b32_e32 v78, 16, v34
	v_lshrrev_b32_e32 v74, 16, v35
	;; [unrolled: 3-line block ×8, first 2 shown]
.LBB0_15:
	s_wait_alu 0xfffe
	s_or_b32 exec_lo, exec_lo, s0
	v_sub_f16_e32 v30, v32, v30
	v_sub_f16_e32 v73, v75, v73
	v_sub_f16_e32 v28, v36, v28
	v_sub_f16_e32 v72, v79, v72
	v_sub_f16_e32 v26, v34, v26
	v_sub_f16_e32 v69, v78, v69
	v_sub_f16_e32 v22, v24, v22
	v_sub_f16_e32 v66, v71, v66
	v_fma_f16 v75, v75, 2.0, -v73
	v_fma_f16 v36, v36, 2.0, -v28
	;; [unrolled: 1-line block ×4, first 2 shown]
	v_sub_f16_e32 v31, v33, v31
	v_fma_f16 v24, v24, 2.0, -v22
	v_fma_f16 v71, v71, 2.0, -v66
	v_sub_f16_e32 v29, v37, v29
	v_sub_f16_e32 v27, v35, v27
	;; [unrolled: 1-line block ×3, first 2 shown]
	v_add_f16_e32 v72, v72, v30
	v_sub_f16_e32 v28, v73, v28
	v_add_f16_e32 v66, v66, v26
	v_sub_f16_e32 v22, v69, v22
	v_fma_f16 v32, v32, 2.0, -v30
	v_fma_f16 v34, v34, 2.0, -v26
	v_sub_f16_e32 v70, v77, v70
	v_fma_f16 v33, v33, 2.0, -v31
	v_sub_f16_e32 v68, v76, v68
	;; [unrolled: 2-line block ×5, first 2 shown]
	v_fma_f16 v30, v30, 2.0, -v72
	v_fma_f16 v73, v73, 2.0, -v28
	v_sub_f16_e32 v71, v78, v71
	v_fma_f16 v26, v26, 2.0, -v66
	v_fma_f16 v69, v69, 2.0, -v22
	;; [unrolled: 1-line block ×5, first 2 shown]
	v_sub_f16_e32 v36, v32, v36
	v_fma_f16 v67, v67, 2.0, -v64
	v_fma_f16 v75, v75, 2.0, -v79
	v_sub_f16_e32 v24, v34, v24
	v_sub_f16_e32 v37, v33, v37
	v_fma_f16 v78, v78, 2.0, -v71
	v_add_f16_e32 v68, v68, v31
	v_sub_f16_e32 v29, v70, v29
	v_sub_f16_e32 v25, v35, v25
	v_add_f16_e32 v64, v64, v27
	v_sub_f16_e32 v23, v65, v23
	v_fmamk_f16 v80, v26, 0xb9a8, v30
	v_fmamk_f16 v81, v69, 0xb9a8, v73
	v_fma_f16 v32, v32, 2.0, -v36
	v_fma_f16 v34, v34, 2.0, -v24
	v_sub_f16_e32 v76, v77, v76
	v_fma_f16 v33, v33, 2.0, -v37
	v_sub_f16_e32 v67, v74, v67
	v_fma_f16 v31, v31, 2.0, -v68
	v_fma_f16 v70, v70, 2.0, -v29
	;; [unrolled: 1-line block ×4, first 2 shown]
	v_sub_f16_e32 v78, v75, v78
	v_fmac_f16_e32 v80, 0x39a8, v69
	v_fma_f16 v65, v65, 2.0, -v23
	v_fmac_f16_e32 v81, 0xb9a8, v26
	v_sub_f16_e32 v83, v79, v24
	v_fma_f16 v77, v77, 2.0, -v76
	v_fma_f16 v74, v74, 2.0, -v67
	v_sub_f16_e32 v34, v32, v34
	v_fma_f16 v69, v75, 2.0, -v78
	v_fma_f16 v26, v30, 2.0, -v80
	v_fmamk_f16 v75, v66, 0x39a8, v72
	v_fmamk_f16 v84, v22, 0x39a8, v28
	v_fma_f16 v30, v73, 2.0, -v81
	v_fma_f16 v73, v79, 2.0, -v83
	v_fmamk_f16 v79, v27, 0xb9a8, v31
	v_sub_f16_e32 v35, v33, v35
	v_fmamk_f16 v85, v65, 0xb9a8, v70
	v_fma_f16 v32, v32, 2.0, -v34
	v_add_f16_e32 v82, v71, v36
	v_fmac_f16_e32 v75, 0x39a8, v22
	v_fmac_f16_e32 v84, 0xb9a8, v66
	v_sub_f16_e32 v74, v77, v74
	v_fmac_f16_e32 v79, 0x39a8, v65
	v_fma_f16 v22, v33, 2.0, -v35
	v_fmac_f16_e32 v85, 0xb9a8, v27
	v_fmamk_f16 v87, v64, 0x39a8, v68
	v_add_f16_e32 v88, v67, v37
	v_fmamk_f16 v90, v23, 0x39a8, v29
	v_fma_f16 v36, v36, 2.0, -v82
	v_fma_f16 v86, v28, 2.0, -v84
	;; [unrolled: 1-line block ×4, first 2 shown]
	v_sub_f16_e32 v89, v76, v25
	v_fma_f16 v31, v70, 2.0, -v85
	v_fmac_f16_e32 v87, 0x39a8, v23
	v_fma_f16 v37, v37, 2.0, -v88
	v_fmac_f16_e32 v90, 0xb9a8, v64
	v_sub_f16_e32 v24, v32, v22
	v_fma_f16 v72, v72, 2.0, -v75
	v_fma_f16 v67, v76, 2.0, -v89
	;; [unrolled: 1-line block ×3, first 2 shown]
	v_sub_f16_e32 v65, v69, v28
	v_fma_f16 v28, v29, 2.0, -v90
	v_fma_f16 v22, v32, 2.0, -v24
	v_fmamk_f16 v66, v31, 0xbb64, v30
	v_fmamk_f16 v32, v37, 0xb9a8, v36
	;; [unrolled: 1-line block ×5, first 2 shown]
	v_fmac_f16_e32 v66, 0xb61f, v27
	v_fmac_f16_e32 v32, 0x39a8, v67
	v_sub_f16_e32 v67, v78, v35
	v_fmamk_f16 v25, v27, 0xbb64, v26
	v_fma_f16 v64, v69, 2.0, -v65
	v_fmac_f16_e32 v76, 0xb9a8, v37
	v_fmac_f16_e32 v33, 0x3b64, v28
	v_fma_f16 v69, v30, 2.0, -v66
	v_fma_f16 v30, v36, 2.0, -v32
	v_fmac_f16_e32 v71, 0xbb64, v68
	v_add_f16_e32 v28, v74, v34
	v_fmamk_f16 v29, v79, 0x361f, v80
	v_fmamk_f16 v70, v85, 0x361f, v81
	v_fma_f16 v68, v78, 2.0, -v67
	v_fmamk_f16 v36, v88, 0x39a8, v82
	v_fmamk_f16 v78, v89, 0x39a8, v83
	;; [unrolled: 1-line block ×4, first 2 shown]
	v_fmac_f16_e32 v25, 0x361f, v31
	v_fmac_f16_e32 v29, 0x3b64, v85
	;; [unrolled: 1-line block ×7, first 2 shown]
	v_fma_f16 v23, v26, 2.0, -v25
	v_fma_f16 v77, v73, 2.0, -v76
	;; [unrolled: 1-line block ×11, first 2 shown]
	global_wb scope:SCOPE_SE
	s_barrier_signal -1
	s_barrier_wait -1
	global_inv scope:SCOPE_SE
	s_and_saveexec_b32 s0, vcc_lo
	s_cbranch_execz .LBB0_17
; %bb.16:
	v_perm_b32 v83, v72, v31, 0x5040100
	v_perm_b32 v82, v77, v30, 0x5040100
	;; [unrolled: 1-line block ×16, first 2 shown]
	ds_store_b128 v45, v[80:83]
	ds_store_b128 v45, v[84:87] offset:16
	ds_store_b128 v45, v[88:91] offset:32
	;; [unrolled: 1-line block ×3, first 2 shown]
.LBB0_17:
	s_wait_alu 0xfffe
	s_or_b32 exec_lo, exec_lo, s0
	global_wb scope:SCOPE_SE
	s_wait_dscnt 0x0
	s_barrier_signal -1
	s_barrier_wait -1
	global_inv scope:SCOPE_SE
	s_and_saveexec_b32 s0, vcc_lo
	s_cbranch_execz .LBB0_19
; %bb.18:
	v_add_nc_u32_e32 v24, 0x200, v38
	v_add_nc_u32_e32 v28, 0x800, v38
	;; [unrolled: 1-line block ×5, first 2 shown]
	ds_load_2addr_b32 v[30:31], v24 offset0:64 offset1:160
	v_add_nc_u32_e32 v24, 0xc00, v38
	ds_load_2addr_b32 v[34:35], v28 offset0:64 offset1:160
	v_add_nc_u32_e32 v28, 0x1000, v38
	ds_load_2addr_b32 v[22:23], v38 offset1:96
	ds_load_2addr_b32 v[26:27], v25 offset0:128 offset1:224
	ds_load_2addr_b32 v[24:25], v24 offset1:96
	ds_load_2addr_b32 v[32:33], v29 offset0:64 offset1:160
	ds_load_2addr_b32 v[28:29], v28 offset0:128 offset1:224
	ds_load_2addr_b32 v[36:37], v36 offset0:64 offset1:160
	s_wait_dscnt 0x7
	v_lshrrev_b32_e32 v77, 16, v30
	v_lshrrev_b32_e32 v72, 16, v31
	s_wait_dscnt 0x6
	v_lshrrev_b32_e32 v79, 16, v34
	v_lshrrev_b32_e32 v75, 16, v35
	;; [unrolled: 3-line block ×8, first 2 shown]
.LBB0_19:
	s_wait_alu 0xfffe
	s_or_b32 exec_lo, exec_lo, s0
	global_wb scope:SCOPE_SE
	s_barrier_signal -1
	s_barrier_wait -1
	global_inv scope:SCOPE_SE
	s_and_saveexec_b32 s0, vcc_lo
	s_cbranch_execz .LBB0_21
; %bb.20:
	v_mul_f16_e32 v45, v54, v30
	v_mul_f16_e32 v54, v54, v77
	;; [unrolled: 1-line block ×5, first 2 shown]
	v_fma_f16 v45, v2, v77, -v45
	v_mul_f16_e32 v77, v44, v65
	v_mul_f16_e32 v82, v57, v36
	;; [unrolled: 1-line block ×3, first 2 shown]
	v_fmac_f16_e32 v81, v6, v34
	v_mul_f16_e32 v34, v57, v78
	v_fmac_f16_e32 v77, v8, v24
	v_fma_f16 v6, v6, v79, -v56
	v_fma_f16 v56, v19, v78, -v82
	v_fmac_f16_e32 v55, v10, v32
	v_mul_f16_e32 v78, v53, v74
	v_sub_f16_e32 v32, v22, v77
	v_mul_f16_e32 v77, v52, v75
	v_fma_f16 v80, v10, v76, -v80
	v_fmac_f16_e32 v54, v2, v30
	v_fmac_f16_e32 v34, v19, v36
	v_mul_f16_e32 v36, v50, v31
	v_fmac_f16_e32 v77, v7, v35
	v_fmac_f16_e32 v78, v20, v37
	v_mul_f16_e32 v35, v52, v35
	v_mul_f16_e32 v37, v53, v37
	;; [unrolled: 1-line block ×4, first 2 shown]
	v_sub_f16_e32 v30, v54, v55
	v_sub_f16_e32 v55, v45, v80
	v_mul_f16_e32 v80, v47, v25
	v_mul_f16_e32 v84, v48, v73
	;; [unrolled: 1-line block ×3, first 2 shown]
	v_fma_f16 v7, v7, v75, -v35
	v_fma_f16 v20, v20, v74, -v37
	v_fmac_f16_e32 v50, v3, v31
	v_mul_f16_e32 v31, v46, v69
	v_mul_f16_e32 v35, v47, v66
	v_fma_f16 v10, v12, v67, -v76
	v_fma_f16 v36, v3, v72, -v36
	v_mul_f16_e32 v76, v51, v33
	v_mul_f16_e32 v79, v46, v23
	v_fma_f16 v80, v9, v66, -v80
	v_fmac_f16_e32 v84, v5, v27
	v_fmac_f16_e32 v85, v18, v29
	v_mul_f16_e32 v3, v51, v71
	v_mul_f16_e32 v27, v48, v27
	;; [unrolled: 1-line block ×3, first 2 shown]
	v_fmac_f16_e32 v31, v1, v23
	v_fmac_f16_e32 v35, v9, v25
	v_sub_f16_e32 v9, v7, v20
	v_mul_f16_e32 v20, v44, v24
	v_mul_f16_e32 v23, v42, v68
	;; [unrolled: 1-line block ×4, first 2 shown]
	v_fma_f16 v76, v11, v71, -v76
	v_fma_f16 v79, v1, v69, -v79
	v_fmac_f16_e32 v3, v11, v33
	v_fma_f16 v5, v5, v73, -v27
	v_fma_f16 v11, v18, v70, -v29
	;; [unrolled: 1-line block ×3, first 2 shown]
	v_fmac_f16_e32 v23, v4, v26
	v_fmac_f16_e32 v24, v12, v28
	v_fma_f16 v2, v4, v68, -v57
	v_sub_f16_e32 v34, v81, v34
	v_sub_f16_e32 v76, v36, v76
	;; [unrolled: 1-line block ×13, first 2 shown]
	v_add_f16_e32 v25, v9, v3
	v_add_f16_e32 v27, v11, v18
	v_sub_f16_e32 v4, v76, v78
	v_sub_f16_e32 v12, v80, v1
	;; [unrolled: 1-line block ×3, first 2 shown]
	v_add_f16_e32 v56, v19, v30
	v_add_f16_e32 v57, v10, v32
	v_fmamk_f16 v20, v25, 0x39a8, v27
	v_fmamk_f16 v26, v4, 0x39a8, v12
	;; [unrolled: 1-line block ×3, first 2 shown]
	v_fma_f16 v35, v45, 2.0, -v55
	v_fma_f16 v6, v6, 2.0, -v19
	;; [unrolled: 1-line block ×8, first 2 shown]
	v_fmamk_f16 v83, v56, 0x39a8, v57
	v_fmac_f16_e32 v20, 0x39a8, v4
	v_fmac_f16_e32 v26, 0xb9a8, v25
	;; [unrolled: 1-line block ×3, first 2 shown]
	v_sub_f16_e32 v6, v35, v6
	v_sub_f16_e32 v22, v19, v22
	v_fma_f16 v37, v79, 2.0, -v80
	v_fma_f16 v5, v5, 2.0, -v11
	;; [unrolled: 1-line block ×4, first 2 shown]
	v_sub_f16_e32 v7, v36, v7
	v_sub_f16_e32 v1, v9, v1
	v_fma_f16 v46, v80, 2.0, -v12
	v_fma_f16 v4, v76, 2.0, -v4
	;; [unrolled: 1-line block ×4, first 2 shown]
	v_fmac_f16_e32 v83, 0x39a8, v82
	v_fmamk_f16 v24, v26, 0x3b64, v33
	v_fma_f16 v42, v64, 2.0, -v8
	v_fma_f16 v2, v2, 2.0, -v10
	v_add_f16_e32 v10, v6, v22
	v_sub_f16_e32 v5, v37, v5
	v_sub_f16_e32 v31, v11, v31
	v_add_f16_e32 v43, v7, v1
	v_fma_f16 v44, v54, 2.0, -v30
	v_fma_f16 v32, v32, 2.0, -v57
	;; [unrolled: 1-line block ×3, first 2 shown]
	v_fmamk_f16 v47, v4, 0xb9a8, v46
	v_fmamk_f16 v48, v3, 0xb9a8, v18
	;; [unrolled: 1-line block ×3, first 2 shown]
	v_sub_f16_e32 v2, v42, v2
	v_fma_f16 v45, v55, 2.0, -v82
	v_fma_f16 v8, v8, 2.0, -v28
	;; [unrolled: 1-line block ×3, first 2 shown]
	v_fmamk_f16 v34, v30, 0xb9a8, v32
	v_fmac_f16_e32 v47, 0xb9a8, v3
	v_fmac_f16_e32 v48, 0x39a8, v4
	v_sub_f16_e32 v3, v5, v31
	v_fmamk_f16 v4, v43, 0x39a8, v10
	v_fmac_f16_e32 v24, 0xb61f, v20
	v_fma_f16 v11, v11, 2.0, -v31
	v_fma_f16 v31, v57, 2.0, -v83
	;; [unrolled: 1-line block ×3, first 2 shown]
	v_fmac_f16_e32 v29, 0x361f, v26
	v_fmamk_f16 v49, v45, 0xb9a8, v8
	v_sub_f16_e32 v25, v44, v25
	v_fmac_f16_e32 v34, 0x39a8, v45
	v_fmac_f16_e32 v4, 0x39a8, v3
	v_fma_f16 v7, v36, 2.0, -v7
	v_fma_f16 v36, v42, 2.0, -v2
	;; [unrolled: 1-line block ×5, first 2 shown]
	v_fmamk_f16 v26, v20, 0xb61f, v31
	v_fma_f16 v28, v28, 2.0, -v33
	v_fmac_f16_e32 v49, 0xb9a8, v30
	v_sub_f16_e32 v30, v2, v25
	v_fmamk_f16 v45, v48, 0x361f, v34
	v_fma_f16 v19, v19, 2.0, -v22
	v_fma_f16 v25, v44, 2.0, -v25
	;; [unrolled: 1-line block ×4, first 2 shown]
	v_sub_f16_e32 v6, v36, v6
	v_sub_f16_e32 v11, v9, v11
	v_fma_f16 v10, v22, 2.0, -v10
	v_fma_f16 v1, v1, 2.0, -v43
	v_fmac_f16_e32 v26, 0x3b64, v12
	v_fmamk_f16 v12, v12, 0xb61f, v28
	v_fmamk_f16 v51, v3, 0x39a8, v30
	v_fmac_f16_e32 v45, 0x3b64, v47
	v_sub_f16_e32 v25, v19, v25
	v_sub_f16_e32 v7, v37, v7
	;; [unrolled: 1-line block ×3, first 2 shown]
	v_fma_f16 v3, v5, 2.0, -v3
	v_fmamk_f16 v5, v1, 0xb9a8, v10
	v_fma_f16 v2, v2, 2.0, -v30
	v_fma_f16 v32, v32, 2.0, -v34
	v_fma_f16 v18, v18, 2.0, -v48
	v_fmac_f16_e32 v12, 0xbb64, v20
	v_fma_f16 v20, v46, 2.0, -v47
	v_fma_f16 v8, v8, 2.0, -v49
	;; [unrolled: 1-line block ×3, first 2 shown]
	v_add_f16_e32 v27, v25, v7
	v_fma_f16 v42, v6, 2.0, -v22
	v_fmac_f16_e32 v5, 0x39a8, v3
	v_fmamk_f16 v3, v3, 0xb9a8, v2
	v_fmamk_f16 v34, v18, 0xbb64, v32
	v_fma_f16 v19, v19, 2.0, -v25
	v_fma_f16 v9, v9, 2.0, -v11
	;; [unrolled: 1-line block ×4, first 2 shown]
	v_fmamk_f16 v11, v20, 0xbb64, v8
	v_fmamk_f16 v50, v47, 0x361f, v49
	v_fmac_f16_e32 v34, 0x361f, v20
	v_sub_f16_e32 v9, v19, v9
	v_fmac_f16_e32 v3, 0xb9a8, v1
	v_sub_f16_e32 v1, v6, v7
	v_fmac_f16_e32 v11, 0xb61f, v18
	v_fmac_f16_e32 v50, 0xbb64, v48
	;; [unrolled: 1-line block ×3, first 2 shown]
	v_fma_f16 v31, v31, 2.0, -v26
	v_fma_f16 v7, v32, 2.0, -v34
	;; [unrolled: 1-line block ×3, first 2 shown]
	v_and_or_b32 v17, 0x700, v17, v41
	v_fma_f16 v6, v6, 2.0, -v1
	v_fma_f16 v8, v8, 2.0, -v11
	;; [unrolled: 1-line block ×8, first 2 shown]
	v_lshlrev_b32_e32 v17, 2, v17
	v_pack_b32_f16 v6, v18, v6
	v_pack_b32_f16 v7, v7, v8
	;; [unrolled: 1-line block ×3, first 2 shown]
	v_fma_f16 v19, v30, 2.0, -v51
	v_fma_f16 v20, v33, 2.0, -v24
	v_pack_b32_f16 v2, v10, v2
	v_pack_b32_f16 v10, v35, v42
	;; [unrolled: 1-line block ×3, first 2 shown]
	ds_store_2addr_b32 v17, v6, v7 offset1:16
	ds_store_2addr_b32 v17, v2, v8 offset0:32 offset1:48
	ds_store_2addr_b32 v17, v10, v18 offset0:64 offset1:80
	v_pack_b32_f16 v2, v44, v19
	v_pack_b32_f16 v6, v23, v20
	;; [unrolled: 1-line block ×10, first 2 shown]
	ds_store_2addr_b32 v17, v2, v6 offset0:96 offset1:112
	ds_store_2addr_b32 v17, v1, v7 offset0:128 offset1:144
	;; [unrolled: 1-line block ×5, first 2 shown]
.LBB0_21:
	s_wait_alu 0xfffe
	s_or_b32 exec_lo, exec_lo, s0
	global_wb scope:SCOPE_SE
	s_wait_dscnt 0x0
	s_barrier_signal -1
	s_barrier_wait -1
	global_inv scope:SCOPE_SE
	ds_load_2addr_stride64_b32 v[1:2], v38 offset1:4
	ds_load_2addr_stride64_b32 v[3:4], v38 offset0:8 offset1:12
	ds_load_2addr_stride64_b32 v[5:6], v38 offset0:16 offset1:20
	s_wait_dscnt 0x2
	v_lshrrev_b32_e32 v8, 16, v2
	s_wait_dscnt 0x1
	v_lshrrev_b32_e32 v9, 16, v3
	v_lshrrev_b32_e32 v10, 16, v4
	s_wait_dscnt 0x0
	v_lshrrev_b32_e32 v11, 16, v5
	v_mul_f16_e32 v17, v63, v2
	v_mul_f16_e32 v18, v62, v3
	;; [unrolled: 1-line block ×3, first 2 shown]
	v_lshrrev_b32_e32 v12, 16, v6
	v_mul_f16_e32 v20, v60, v5
	v_mul_f16_e32 v22, v59, v6
	;; [unrolled: 1-line block ×3, first 2 shown]
	v_fma_f16 v8, v13, v8, -v17
	v_mul_f16_e32 v17, v62, v9
	v_fma_f16 v9, v14, v9, -v18
	v_mul_f16_e32 v18, v61, v10
	;; [unrolled: 2-line block ×3, first 2 shown]
	v_lshrrev_b32_e32 v7, 16, v1
	v_fma_f16 v11, v16, v11, -v20
	v_mul_f16_e32 v20, v59, v12
	v_fma_f16 v12, v58, v12, -v22
	v_fmac_f16_e32 v17, v14, v3
	v_fmac_f16_e32 v19, v16, v5
	;; [unrolled: 1-line block ×4, first 2 shown]
	v_add_f16_e32 v4, v9, v11
	v_add_f16_e32 v5, v7, v9
	;; [unrolled: 1-line block ×4, first 2 shown]
	v_fmac_f16_e32 v23, v13, v2
	v_sub_f16_e32 v2, v9, v11
	v_add_f16_e32 v9, v1, v17
	v_fmac_f16_e32 v1, -0.5, v3
	v_fmac_f16_e32 v7, -0.5, v4
	v_sub_f16_e32 v3, v17, v19
	v_add_f16_e32 v4, v5, v11
	v_add_f16_e32 v11, v18, v20
	;; [unrolled: 1-line block ×3, first 2 shown]
	v_fmac_f16_e32 v8, -0.5, v6
	v_sub_f16_e32 v6, v18, v20
	v_add_f16_e32 v5, v9, v19
	v_fmamk_f16 v9, v2, 0xbaee, v1
	v_fmac_f16_e32 v1, 0x3aee, v2
	v_fmamk_f16 v2, v3, 0x3aee, v7
	v_add_f16_e32 v14, v23, v18
	v_fmac_f16_e32 v23, -0.5, v11
	v_sub_f16_e32 v10, v10, v12
	v_fmac_f16_e32 v7, 0xbaee, v3
	v_fmamk_f16 v3, v6, 0x3aee, v8
	v_fmac_f16_e32 v8, 0xbaee, v6
	v_add_f16_e32 v6, v14, v20
	v_fmamk_f16 v11, v10, 0xbaee, v23
	v_fmac_f16_e32 v23, 0x3aee, v10
	v_mul_f16_e32 v10, 0xbaee, v3
	v_mul_f16_e32 v3, 0.5, v3
	v_mul_f16_e32 v14, 0xbaee, v8
	v_mul_f16_e32 v8, -0.5, v8
	v_add_f16_e32 v12, v13, v12
	v_fmac_f16_e32 v10, 0.5, v11
	v_fmac_f16_e32 v3, 0x3aee, v11
	v_fmac_f16_e32 v14, -0.5, v23
	v_fmac_f16_e32 v8, 0x3aee, v23
	v_add_f16_e32 v13, v5, v6
	v_add_f16_e32 v11, v9, v10
	;; [unrolled: 1-line block ×6, first 2 shown]
	v_sub_f16_e32 v5, v5, v6
	v_sub_f16_e32 v4, v4, v12
	;; [unrolled: 1-line block ×6, first 2 shown]
	v_pack_b32_f16 v7, v13, v16
	v_pack_b32_f16 v8, v11, v17
	;; [unrolled: 1-line block ×6, first 2 shown]
	ds_store_2addr_stride64_b32 v38, v7, v8 offset1:4
	ds_store_2addr_stride64_b32 v38, v9, v4 offset0:8 offset1:12
	ds_store_2addr_stride64_b32 v38, v2, v1 offset0:16 offset1:20
	global_wb scope:SCOPE_SE
	s_wait_dscnt 0x0
	s_barrier_signal -1
	s_barrier_wait -1
	global_inv scope:SCOPE_SE
	s_and_b32 exec_lo, exec_lo, vcc_lo
	s_cbranch_execz .LBB0_23
; %bb.22:
	s_clause 0x6
	global_load_b32 v5, v38, s[24:25]
	global_load_b32 v6, v38, s[24:25] offset:384
	global_load_b32 v7, v38, s[24:25] offset:768
	;; [unrolled: 1-line block ×6, first 2 shown]
	ds_load_2addr_b32 v[17:18], v38 offset1:96
	v_mad_co_u64_u32 v[15:16], null, s22, v21, 0
	v_mad_co_u64_u32 v[19:20], null, s20, v0, 0
	v_add_nc_u32_e32 v1, 0x200, v38
	v_add_nc_u32_e32 v11, 0x800, v38
	;; [unrolled: 1-line block ×3, first 2 shown]
	v_mad_co_u64_u32 v[3:4], null, s20, v40, 0
	v_mov_b32_e32 v10, v16
	ds_load_2addr_b32 v[22:23], v1 offset0:64 offset1:160
	ds_load_2addr_b32 v[24:25], v2 offset0:128 offset1:224
	;; [unrolled: 1-line block ×3, first 2 shown]
	v_mov_b32_e32 v11, v20
	s_mov_b32 s28, 0x55555555
	s_mov_b32 s29, 0x3f455555
	s_mul_u64 s[26:27], s[20:21], 0x180
	global_load_b32 v13, v38, s[24:25] offset:2688
	v_mad_co_u64_u32 v[20:21], null, s23, v21, v[10:11]
	v_mad_co_u64_u32 v[26:27], null, s21, v0, v[11:12]
	v_mov_b32_e32 v21, v4
	s_wait_dscnt 0x3
	v_lshrrev_b32_e32 v0, 16, v17
	v_lshrrev_b32_e32 v27, 16, v18
	s_clause 0x2
	global_load_b32 v10, v38, s[24:25] offset:3072
	global_load_b32 v11, v38, s[24:25] offset:3456
	global_load_b32 v12, v38, s[24:25] offset:3840
	v_mov_b32_e32 v16, v20
	v_mov_b32_e32 v20, v26
	s_wait_dscnt 0x2
	v_lshrrev_b32_e32 v28, 16, v22
	v_lshrrev_b32_e32 v29, 16, v23
	s_wait_dscnt 0x1
	v_lshrrev_b32_e32 v30, 16, v24
	v_lshrrev_b32_e32 v31, 16, v25
	v_lshlrev_b64_e32 v[19:20], 2, v[19:20]
	s_wait_dscnt 0x0
	v_lshrrev_b32_e32 v50, 16, v1
	s_wait_loadcnt 0xa
	v_lshrrev_b32_e32 v4, 16, v5
	s_wait_loadcnt 0x9
	;; [unrolled: 2-line block ×5, first 2 shown]
	v_lshrrev_b32_e32 v35, 16, v9
	v_mul_f16_e32 v33, v0, v4
	v_mul_f16_e32 v4, v17, v4
	;; [unrolled: 1-line block ×4, first 2 shown]
	s_wait_loadcnt 0x5
	v_lshrrev_b32_e32 v36, 16, v14
	v_fmac_f16_e32 v33, v17, v5
	v_mul_f16_e32 v17, v27, v26
	v_fma_f16 v0, v5, v0, -v4
	v_mul_f16_e32 v26, v18, v26
	v_fmac_f16_e32 v37, v22, v7
	v_cvt_f32_f16_e32 v4, v33
	v_fmac_f16_e32 v17, v18, v6
	v_cvt_f32_f16_e32 v0, v0
	v_fma_f16 v6, v6, v27, -v26
	v_mul_f16_e32 v33, v29, v34
	v_cvt_f64_f32_e32 v[4:5], v4
	v_cvt_f32_f16_e32 v41, v17
	v_cvt_f64_f32_e32 v[17:18], v0
	v_cvt_f32_f16_e32 v6, v6
	v_cvt_f32_f16_e32 v22, v37
	v_fma_f16 v28, v7, v28, -v32
	v_cvt_f64_f32_e32 v[26:27], v41
	v_mul_f16_e32 v34, v23, v34
	v_cvt_f64_f32_e32 v[6:7], v6
	v_fmac_f16_e32 v33, v23, v8
	v_cvt_f64_f32_e32 v[22:23], v22
	v_cvt_f32_f16_e32 v28, v28
	v_mul_f16_e32 v0, v30, v35
	v_mul_f16_e32 v32, v24, v35
	;; [unrolled: 1-line block ×3, first 2 shown]
	v_fma_f16 v8, v8, v29, -v34
	v_cvt_f32_f16_e32 v33, v33
	v_cvt_f64_f32_e32 v[28:29], v28
	v_mul_f16_e32 v36, v25, v36
	v_fmac_f16_e32 v35, v25, v14
	v_fmac_f16_e32 v0, v24, v9
	v_cvt_f32_f16_e32 v8, v8
	v_cvt_f64_f32_e32 v[24:25], v33
	v_fma_f16 v32, v9, v30, -v32
	v_cvt_f32_f16_e32 v34, v35
	v_fma_f16 v14, v14, v31, -v36
	v_cvt_f32_f16_e32 v0, v0
	v_cvt_f64_f32_e32 v[30:31], v8
	v_lshlrev_b64_e32 v[8:9], 2, v[15:16]
	v_cvt_f32_f16_e32 v16, v32
	v_cvt_f64_f32_e32 v[34:35], v34
	v_cvt_f32_f16_e32 v36, v14
	v_cvt_f64_f32_e32 v[14:15], v0
	s_wait_loadcnt 0x4
	v_lshrrev_b32_e32 v0, 16, v49
	v_cvt_f64_f32_e32 v[32:33], v16
	v_add_co_u32 v8, vcc_lo, s8, v8
	v_add_co_ci_u32_e32 v9, vcc_lo, s9, v9, vcc_lo
	v_mul_f64_e32 v[41:42], s[28:29], v[4:5]
	v_mul_f64_e32 v[16:17], s[28:29], v[17:18]
	s_delay_alu instid0(VALU_DEP_4)
	v_add_co_u32 v18, vcc_lo, v8, v19
	s_wait_alu 0xfffd
	v_add_co_ci_u32_e32 v19, vcc_lo, v9, v20, vcc_lo
	v_mul_f64_e32 v[26:27], s[28:29], v[26:27]
	v_mul_f64_e32 v[43:44], s[28:29], v[6:7]
	v_add_co_u32 v45, vcc_lo, v18, s26
	v_mul_f64_e32 v[22:23], s[28:29], v[22:23]
	s_wait_alu 0xfffd
	v_add_co_ci_u32_e32 v46, vcc_lo, s27, v19, vcc_lo
	s_delay_alu instid0(VALU_DEP_3)
	v_add_co_u32 v47, vcc_lo, v45, s26
	v_mul_f16_e32 v4, v50, v0
	v_mul_f64_e32 v[28:29], s[28:29], v[28:29]
	s_wait_alu 0xfffd
	v_add_co_ci_u32_e32 v48, vcc_lo, s27, v46, vcc_lo
	v_mul_f16_e32 v5, v1, v0
	v_add_co_u32 v0, vcc_lo, v47, s26
	v_mul_f64_e32 v[24:25], s[28:29], v[24:25]
	v_fmac_f16_e32 v4, v1, v49
	s_wait_alu 0xfffd
	v_add_co_ci_u32_e32 v1, vcc_lo, s27, v48, vcc_lo
	v_mul_f64_e32 v[30:31], s[28:29], v[30:31]
	v_cvt_f64_f32_e32 v[36:37], v36
	v_cvt_f32_f16_e32 v4, v4
	v_mul_f64_e32 v[6:7], s[28:29], v[34:35]
	v_fma_f16 v20, v49, v50, -v5
	v_mul_f64_e32 v[14:15], s[28:29], v[14:15]
	v_mul_f64_e32 v[32:33], s[28:29], v[32:33]
	v_cvt_f64_f32_e32 v[49:50], v4
	v_and_or_b32 v34, 0x1ff, v42, v41
	v_and_or_b32 v16, 0x1ff, v17, v16
	v_lshrrev_b32_e32 v35, 8, v42
	v_lshrrev_b32_e32 v41, 8, v17
	s_delay_alu instid0(VALU_DEP_4)
	v_cmp_ne_u32_e32 vcc_lo, 0, v34
	v_and_or_b32 v26, 0x1ff, v27, v26
	v_and_or_b32 v43, 0x1ff, v44, v43
	v_lshrrev_b32_e32 v51, 8, v27
	v_bfe_u32 v52, v27, 20, 11
	s_wait_alu 0xfffd
	v_cndmask_b32_e64 v34, 0, 1, vcc_lo
	v_cmp_ne_u32_e32 vcc_lo, 0, v16
	v_and_or_b32 v22, 0x1ff, v23, v22
	v_bfe_u32 v54, v44, 20, 11
	v_lshrrev_b32_e32 v53, 8, v44
	v_and_or_b32 v34, 0xffe, v35, v34
	s_wait_alu 0xfffd
	v_cndmask_b32_e64 v16, 0, 1, vcc_lo
	v_cmp_ne_u32_e32 vcc_lo, 0, v26
	v_and_or_b32 v28, 0x1ff, v29, v28
	v_bfe_u32 v56, v23, 20, 11
	v_bfe_u32 v58, v29, 20, 11
	v_and_or_b32 v16, 0xffe, v41, v16
	s_wait_alu 0xfffd
	v_cndmask_b32_e64 v26, 0, 1, vcc_lo
	v_cmp_ne_u32_e32 vcc_lo, 0, v43
	v_and_or_b32 v24, 0x1ff, v25, v24
	v_sub_nc_u32_e32 v71, 0x3f1, v52
	v_and_or_b32 v30, 0x1ff, v31, v30
	v_mul_f64_e32 v[4:5], s[28:29], v[36:37]
	s_wait_alu 0xfffd
	v_cndmask_b32_e64 v43, 0, 1, vcc_lo
	v_cmp_ne_u32_e32 vcc_lo, 0, v22
	v_and_or_b32 v6, 0x1ff, v7, v6
	v_and_or_b32 v14, 0x1ff, v15, v14
	v_bfe_u32 v36, v42, 20, 11
	v_and_or_b32 v32, 0x1ff, v33, v32
	s_wait_alu 0xfffd
	v_cndmask_b32_e64 v22, 0, 1, vcc_lo
	v_cmp_ne_u32_e32 vcc_lo, 0, v28
	v_lshrrev_b32_e32 v37, 16, v42
	v_bfe_u32 v42, v17, 20, 11
	v_sub_nc_u32_e32 v69, 0x3f1, v36
	v_add_nc_u32_e32 v36, 0xfffffc10, v36
	s_wait_alu 0xfffd
	v_cndmask_b32_e64 v28, 0, 1, vcc_lo
	v_cmp_ne_u32_e32 vcc_lo, 0, v24
	v_sub_nc_u32_e32 v70, 0x3f1, v42
	v_add_nc_u32_e32 v42, 0xfffffc10, v42
	v_sub_nc_u32_e32 v72, 0x3f1, v54
	v_med3_i32 v35, v69, 0, 13
	s_wait_alu 0xfffd
	v_cndmask_b32_e64 v24, 0, 1, vcc_lo
	v_cmp_ne_u32_e32 vcc_lo, 0, v30
	v_med3_i32 v41, v70, 0, 13
	v_and_or_b32 v26, 0xffe, v51, v26
	v_or_b32_e32 v69, 0x1000, v34
	v_lshl_or_b32 v70, v36, 12, v34
	s_wait_alu 0xfffd
	v_cndmask_b32_e64 v30, 0, 1, vcc_lo
	v_cmp_ne_u32_e32 vcc_lo, 0, v14
	v_lshrrev_b32_e32 v55, 8, v23
	v_lshrrev_b32_e32 v57, 8, v29
	v_bfe_u32 v60, v25, 20, 11
	v_bfe_u32 v62, v31, 20, 11
	s_wait_alu 0xfffd
	v_cndmask_b32_e64 v14, 0, 1, vcc_lo
	v_cmp_ne_u32_e32 vcc_lo, 0, v32
	v_add_nc_u32_e32 v52, 0xfffffc10, v52
	v_sub_nc_u32_e32 v73, 0x3f1, v56
	v_sub_nc_u32_e32 v74, 0x3f1, v58
	v_med3_i32 v51, v71, 0, 13
	s_wait_alu 0xfffd
	v_cndmask_b32_e64 v32, 0, 1, vcc_lo
	v_cmp_ne_u32_e32 vcc_lo, 0, v6
	v_and_or_b32 v43, 0xffe, v53, v43
	v_med3_i32 v53, v72, 0, 13
	v_or_b32_e32 v71, 0x1000, v16
	v_lshl_or_b32 v72, v42, 12, v16
	s_wait_alu 0xfffd
	v_cndmask_b32_e64 v6, 0, 1, vcc_lo
	v_cmp_ne_u32_e32 vcc_lo, 0, v34
	v_lshrrev_b32_e32 v59, 8, v25
	v_lshrrev_b32_e32 v61, 8, v31
	v_bfe_u32 v64, v15, 20, 11
	v_bfe_u32 v66, v33, 20, 11
	s_wait_alu 0xfffd
	v_cndmask_b32_e64 v34, 0, 1, vcc_lo
	v_cmp_ne_u32_e32 vcc_lo, 0, v16
	v_add_nc_u32_e32 v54, 0xfffffc10, v54
	v_sub_nc_u32_e32 v75, 0x3f1, v60
	v_sub_nc_u32_e32 v76, 0x3f1, v62
	v_and_or_b32 v22, 0xffe, v55, v22
	s_wait_alu 0xfffd
	v_cndmask_b32_e64 v16, 0, 1, vcc_lo
	v_cmp_ne_u32_e32 vcc_lo, 0, v26
	v_med3_i32 v55, v73, 0, 13
	v_and_or_b32 v28, 0xffe, v57, v28
	v_med3_i32 v57, v74, 0, 13
	v_or_b32_e32 v73, 0x1000, v26
	v_lshl_or_b32 v74, v52, 12, v26
	s_wait_alu 0xfffd
	v_cndmask_b32_e64 v26, 0, 1, vcc_lo
	v_cmp_ne_u32_e32 vcc_lo, 0, v43
	v_lshrrev_b32_e32 v63, 8, v15
	v_lshrrev_b32_e32 v65, 8, v33
	v_bfe_u32 v68, v7, 20, 11
	v_add_nc_u32_e32 v56, 0xfffffc10, v56
	v_sub_nc_u32_e32 v77, 0x3f1, v64
	v_sub_nc_u32_e32 v78, 0x3f1, v66
	v_and_or_b32 v24, 0xffe, v59, v24
	v_med3_i32 v59, v75, 0, 13
	v_and_or_b32 v30, 0xffe, v61, v30
	v_med3_i32 v61, v76, 0, 13
	v_or_b32_e32 v75, 0x1000, v43
	v_lshl_or_b32 v76, v54, 12, v43
	s_wait_alu 0xfffd
	v_cndmask_b32_e64 v43, 0, 1, vcc_lo
	v_cmp_ne_u32_e32 vcc_lo, 0, v22
	v_lshrrev_b32_e32 v67, 8, v7
	v_add_nc_u32_e32 v58, 0xfffffc10, v58
	v_sub_nc_u32_e32 v79, 0x3f1, v68
	v_and_or_b32 v14, 0xffe, v63, v14
	v_med3_i32 v63, v77, 0, 13
	v_and_or_b32 v32, 0xffe, v65, v32
	v_med3_i32 v65, v78, 0, 13
	v_or_b32_e32 v77, 0x1000, v22
	v_lshl_or_b32 v78, v56, 12, v22
	s_wait_alu 0xfffd
	v_cndmask_b32_e64 v22, 0, 1, vcc_lo
	v_cmp_ne_u32_e32 vcc_lo, 0, v28
	v_add_nc_u32_e32 v60, 0xfffffc10, v60
	v_and_or_b32 v6, 0xffe, v67, v6
	v_med3_i32 v67, v79, 0, 13
	v_or_b32_e32 v79, 0x1000, v28
	v_lshl_or_b32 v80, v58, 12, v28
	s_wait_alu 0xfffd
	v_cndmask_b32_e64 v28, 0, 1, vcc_lo
	v_cmp_ne_u32_e32 vcc_lo, 0, v24
	v_add_nc_u32_e32 v62, 0xfffffc10, v62
	v_or_b32_e32 v81, 0x1000, v24
	v_lshl_or_b32 v82, v60, 12, v24
	v_add_nc_u32_e32 v64, 0xfffffc10, v64
	s_wait_alu 0xfffd
	v_cndmask_b32_e64 v24, 0, 1, vcc_lo
	v_cmp_ne_u32_e32 vcc_lo, 0, v30
	v_or_b32_e32 v83, 0x1000, v30
	v_lshl_or_b32 v84, v62, 12, v30
	v_lshrrev_b32_e32 v90, v35, v69
	v_add_nc_u32_e32 v66, 0xfffffc10, v66
	s_wait_alu 0xfffd
	v_cndmask_b32_e64 v30, 0, 1, vcc_lo
	v_cmp_ne_u32_e32 vcc_lo, 0, v14
	v_or_b32_e32 v85, 0x1000, v14
	v_lshl_or_b32 v86, v64, 12, v14
	v_lshrrev_b32_e32 v91, v41, v71
	v_lshl_or_b32 v16, v16, 9, 0x7c00
	s_wait_alu 0xfffd
	v_cndmask_b32_e64 v14, 0, 1, vcc_lo
	v_cmp_ne_u32_e32 vcc_lo, 0, v32
	v_lshlrev_b32_e32 v35, v35, v90
	v_or_b32_e32 v87, 0x1000, v32
	v_lshl_or_b32 v88, v66, 12, v32
	v_lshl_or_b32 v34, v34, 9, 0x7c00
	s_wait_alu 0xfffd
	v_cndmask_b32_e64 v32, 0, 1, vcc_lo
	v_lshrrev_b32_e32 v92, v51, v73
	v_lshlrev_b32_e32 v41, v41, v91
	v_cmp_ne_u32_e32 vcc_lo, v35, v69
	v_lshrrev_b32_e32 v93, v53, v75
	v_lshl_or_b32 v30, v30, 9, 0x7c00
	v_lshlrev_b32_e32 v51, v51, v92
	v_lshl_or_b32 v26, v26, 9, 0x7c00
	s_wait_alu 0xfffd
	v_cndmask_b32_e64 v35, 0, 1, vcc_lo
	v_cmp_ne_u32_e32 vcc_lo, v41, v71
	v_lshrrev_b32_e32 v94, v55, v77
	v_lshlrev_b32_e32 v53, v53, v93
	v_lshrrev_b32_e32 v95, v57, v79
	v_lshl_or_b32 v28, v28, 9, 0x7c00
	s_wait_alu 0xfffd
	v_cndmask_b32_e64 v41, 0, 1, vcc_lo
	v_cmp_ne_u32_e32 vcc_lo, v51, v73
	v_lshlrev_b32_e32 v55, v55, v94
	v_lshl_or_b32 v22, v22, 9, 0x7c00
	v_lshrrev_b32_e32 v96, v59, v81
	v_lshlrev_b32_e32 v57, v57, v95
	s_wait_alu 0xfffd
	v_cndmask_b32_e64 v51, 0, 1, vcc_lo
	v_cmp_ne_u32_e32 vcc_lo, v53, v75
	v_lshrrev_b32_e32 v97, v61, v83
	v_lshlrev_b32_e32 v59, v59, v96
	v_lshl_or_b32 v24, v24, 9, 0x7c00
	v_lshrrev_b32_e32 v98, v63, v85
	s_wait_alu 0xfffd
	v_cndmask_b32_e64 v53, 0, 1, vcc_lo
	v_cmp_ne_u32_e32 vcc_lo, v55, v77
	v_lshlrev_b32_e32 v61, v61, v97
	v_or_b32_e32 v89, 0x1000, v6
	v_lshrrev_b32_e32 v99, v65, v87
	v_lshl_or_b32 v32, v32, 9, 0x7c00
	s_wait_alu 0xfffd
	v_cndmask_b32_e64 v55, 0, 1, vcc_lo
	v_cmp_ne_u32_e32 vcc_lo, v57, v79
	v_lshlrev_b32_e32 v63, v63, v98
	v_lshl_or_b32 v14, v14, 9, 0x7c00
	v_lshrrev_b32_e32 v100, v67, v89
	v_lshlrev_b32_e32 v65, v65, v99
	s_wait_alu 0xfffd
	v_cndmask_b32_e64 v57, 0, 1, vcc_lo
	v_cmp_ne_u32_e32 vcc_lo, v59, v81
	v_or_b32_e32 v35, v90, v35
	v_lshlrev_b32_e32 v67, v67, v100
	v_or_b32_e32 v41, v91, v41
	v_or_b32_e32 v51, v92, v51
	s_wait_alu 0xfffd
	v_cndmask_b32_e64 v59, 0, 1, vcc_lo
	v_cmp_ne_u32_e32 vcc_lo, v61, v83
	v_or_b32_e32 v53, v93, v53
	v_or_b32_e32 v55, v94, v55
	;; [unrolled: 1-line block ×4, first 2 shown]
	s_wait_alu 0xfffd
	v_cndmask_b32_e64 v61, 0, 1, vcc_lo
	v_cmp_ne_u32_e32 vcc_lo, v63, v85
	v_lshl_or_b32 v43, v43, 9, 0x7c00
	v_lshrrev_b32_e32 v17, 16, v17
	v_lshrrev_b32_e32 v27, 16, v27
	v_or_b32_e32 v61, v97, v61
	s_wait_alu 0xfffd
	v_cndmask_b32_e64 v63, 0, 1, vcc_lo
	v_cmp_ne_u32_e32 vcc_lo, v65, v87
	v_lshrrev_b32_e32 v23, 16, v23
	v_lshrrev_b32_e32 v25, 16, v25
	;; [unrolled: 1-line block ×3, first 2 shown]
	v_or_b32_e32 v63, v98, v63
	s_wait_alu 0xfffd
	v_cndmask_b32_e64 v65, 0, 1, vcc_lo
	v_cmp_ne_u32_e32 vcc_lo, v67, v89
	v_lshrrev_b32_e32 v29, 16, v29
	v_and_or_b32 v4, 0x1ff, v5, v4
	v_lshrrev_b32_e32 v15, 16, v15
	v_or_b32_e32 v65, v99, v65
	s_wait_alu 0xfffd
	v_cndmask_b32_e64 v67, 0, 1, vcc_lo
	v_cmp_gt_i32_e32 vcc_lo, 1, v36
	v_lshrrev_b32_e32 v31, 16, v31
	v_lshrrev_b32_e32 v7, 16, v7
	s_wait_alu 0xfffd
	v_cndmask_b32_e32 v35, v70, v35, vcc_lo
	v_cmp_gt_i32_e32 vcc_lo, 1, v42
	s_delay_alu instid0(VALU_DEP_2)
	v_and_b32_e32 v69, 7, v35
	s_wait_alu 0xfffd
	v_cndmask_b32_e32 v41, v72, v41, vcc_lo
	v_cmp_gt_i32_e32 vcc_lo, 1, v52
	v_lshrrev_b32_e32 v35, 2, v35
	v_cmp_eq_u32_e64 s0, 3, v69
	s_wait_alu 0xfffd
	v_cndmask_b32_e32 v51, v74, v51, vcc_lo
	v_cmp_gt_i32_e32 vcc_lo, 1, v54
	s_delay_alu instid0(VALU_DEP_2)
	v_and_b32_e32 v71, 7, v51
	s_wait_alu 0xfffd
	v_cndmask_b32_e32 v53, v76, v53, vcc_lo
	v_cmp_gt_i32_e32 vcc_lo, 1, v56
	v_lshrrev_b32_e32 v51, 2, v51
	v_cmp_lt_i32_e64 s3, 5, v71
	v_cmp_eq_u32_e64 s4, 3, v71
	s_wait_alu 0xfffd
	v_cndmask_b32_e32 v55, v78, v55, vcc_lo
	v_cmp_gt_i32_e32 vcc_lo, 1, v58
	s_delay_alu instid0(VALU_DEP_2)
	v_and_b32_e32 v73, 7, v55
	s_wait_alu 0xfffd
	v_cndmask_b32_e32 v57, v80, v57, vcc_lo
	v_cmp_gt_i32_e32 vcc_lo, 1, v60
	v_lshrrev_b32_e32 v55, 2, v55
	v_cmp_lt_i32_e64 s7, 5, v73
	;; [unrolled: 11-line block ×3, first 2 shown]
	v_cmp_eq_u32_e64 s12, 3, v75
	s_wait_alu 0xfffd
	v_cndmask_b32_e32 v63, v86, v63, vcc_lo
	v_cmp_gt_i32_e32 vcc_lo, 1, v66
	s_delay_alu instid0(VALU_DEP_2)
	v_and_b32_e32 v77, 7, v63
	s_wait_alu 0xfffd
	v_cndmask_b32_e32 v65, v88, v65, vcc_lo
	v_cmp_lt_i32_e32 vcc_lo, 5, v69
	v_lshrrev_b32_e32 v63, 2, v63
	v_cmp_lt_i32_e64 s15, 5, v77
	v_cmp_eq_u32_e64 s16, 3, v77
	s_or_b32 vcc_lo, s0, vcc_lo
	s_wait_alu 0xfffe
	v_add_co_ci_u32_e32 v35, vcc_lo, 0, v35, vcc_lo
	v_and_b32_e32 v70, 7, v41
	v_lshrrev_b32_e32 v41, 2, v41
	s_delay_alu instid0(VALU_DEP_2) | instskip(SKIP_1) | instid1(VALU_DEP_1)
	v_cmp_lt_i32_e64 s1, 5, v70
	v_cmp_eq_u32_e64 s2, 3, v70
	s_or_b32 vcc_lo, s2, s1
	s_wait_alu 0xfffe
	v_add_co_ci_u32_e32 v41, vcc_lo, 0, v41, vcc_lo
	s_or_b32 vcc_lo, s4, s3
	s_mul_i32 s3, s21, 0x300
	s_wait_alu 0xfffe
	v_add_co_ci_u32_e32 v51, vcc_lo, 0, v51, vcc_lo
	v_and_b32_e32 v72, 7, v53
	v_lshrrev_b32_e32 v53, 2, v53
	s_delay_alu instid0(VALU_DEP_2) | instskip(SKIP_1) | instid1(VALU_DEP_1)
	v_cmp_lt_i32_e64 s5, 5, v72
	v_cmp_eq_u32_e64 s6, 3, v72
	s_or_b32 vcc_lo, s6, s5
	s_wait_alu 0xfffe
	v_add_co_ci_u32_e32 v53, vcc_lo, 0, v53, vcc_lo
	s_or_b32 vcc_lo, s8, s7
	s_wait_alu 0xfffe
	v_add_co_ci_u32_e32 v55, vcc_lo, 0, v55, vcc_lo
	v_and_b32_e32 v74, 7, v57
	v_lshrrev_b32_e32 v57, 2, v57
	s_delay_alu instid0(VALU_DEP_2) | instskip(SKIP_1) | instid1(VALU_DEP_1)
	v_cmp_lt_i32_e64 s9, 5, v74
	v_cmp_eq_u32_e64 s10, 3, v74
	s_or_b32 vcc_lo, s10, s9
	s_wait_alu 0xfffe
	v_add_co_ci_u32_e32 v57, vcc_lo, 0, v57, vcc_lo
	s_or_b32 vcc_lo, s12, s11
	;; [unrolled: 11-line block ×3, first 2 shown]
	s_wait_alu 0xfffe
	v_add_co_ci_u32_e32 v63, vcc_lo, 0, v63, vcc_lo
	v_and_b32_e32 v78, 7, v65
	v_lshrrev_b32_e32 v65, 2, v65
	s_delay_alu instid0(VALU_DEP_2) | instskip(SKIP_1) | instid1(VALU_DEP_1)
	v_cmp_lt_i32_e64 s17, 5, v78
	v_cmp_eq_u32_e64 s18, 3, v78
	s_or_b32 vcc_lo, s18, s17
	s_wait_alu 0xfffe
	v_add_co_ci_u32_e32 v65, vcc_lo, 0, v65, vcc_lo
	v_cmp_gt_i32_e32 vcc_lo, 31, v36
	s_wait_alu 0xfffd
	v_cndmask_b32_e32 v35, 0x7c00, v35, vcc_lo
	v_cmp_gt_i32_e32 vcc_lo, 31, v42
	s_wait_alu 0xfffd
	v_cndmask_b32_e32 v41, 0x7c00, v41, vcc_lo
	;; [unrolled: 3-line block ×10, first 2 shown]
	v_cmp_eq_u32_e32 vcc_lo, 0x40f, v36
	s_wait_alu 0xfffd
	v_cndmask_b32_e32 v34, v35, v34, vcc_lo
	v_cmp_eq_u32_e32 vcc_lo, 0x40f, v42
	s_delay_alu instid0(VALU_DEP_2) | instskip(SKIP_3) | instid1(VALU_DEP_2)
	v_and_or_b32 v34, 0x8000, v37, v34
	s_wait_alu 0xfffd
	v_cndmask_b32_e32 v16, v41, v16, vcc_lo
	v_cmp_eq_u32_e32 vcc_lo, 0x40f, v52
	v_and_or_b32 v16, 0x8000, v17, v16
	s_wait_alu 0xfffd
	v_cndmask_b32_e32 v26, v51, v26, vcc_lo
	v_cmp_eq_u32_e32 vcc_lo, 0x40f, v54
	v_add_nc_u32_e32 v68, 0xfffffc10, v68
	s_delay_alu instid0(VALU_DEP_3) | instskip(SKIP_3) | instid1(VALU_DEP_3)
	v_and_or_b32 v17, 0x8000, v27, v26
	s_wait_alu 0xfffd
	v_cndmask_b32_e32 v35, v53, v43, vcc_lo
	v_cmp_eq_u32_e32 vcc_lo, 0x40f, v56
	v_and_b32_e32 v17, 0xffff, v17
	s_delay_alu instid0(VALU_DEP_3) | instskip(SKIP_3) | instid1(VALU_DEP_3)
	v_and_or_b32 v26, 0x8000, v44, v35
	s_wait_alu 0xfffd
	v_cndmask_b32_e32 v22, v55, v22, vcc_lo
	v_cmp_eq_u32_e32 vcc_lo, 0x40f, v58
	v_lshl_or_b32 v17, v26, 16, v17
	s_delay_alu instid0(VALU_DEP_3) | instskip(SKIP_3) | instid1(VALU_DEP_3)
	v_and_or_b32 v22, 0x8000, v23, v22
	s_wait_alu 0xfffd
	v_cndmask_b32_e32 v28, v57, v28, vcc_lo
	v_cmp_eq_u32_e32 vcc_lo, 0x40f, v60
	v_and_b32_e32 v22, 0xffff, v22
	s_delay_alu instid0(VALU_DEP_3) | instskip(SKIP_3) | instid1(VALU_DEP_3)
	v_and_or_b32 v23, 0x8000, v29, v28
	s_wait_alu 0xfffd
	v_cndmask_b32_e32 v24, v59, v24, vcc_lo
	v_cmp_eq_u32_e32 vcc_lo, 0x40f, v62
	v_lshl_or_b32 v22, v23, 16, v22
	s_delay_alu instid0(VALU_DEP_3)
	v_and_or_b32 v24, 0x8000, v25, v24
	s_wait_alu 0xfffd
	v_cndmask_b32_e32 v30, v61, v30, vcc_lo
	v_cmp_eq_u32_e32 vcc_lo, 0x40f, v64
	v_and_b32_e32 v25, 0xffff, v34
	v_and_b32_e32 v24, 0xffff, v24
	s_delay_alu instid0(VALU_DEP_4)
	v_and_or_b32 v27, 0x8000, v31, v30
	s_wait_alu 0xfffd
	v_cndmask_b32_e32 v14, v63, v14, vcc_lo
	v_cmp_eq_u32_e32 vcc_lo, 0x40f, v66
	v_lshl_or_b32 v16, v16, 16, v25
	s_clause 0x2
	global_store_b32 v[18:19], v16, off
	global_store_b32 v[45:46], v17, off
	;; [unrolled: 1-line block ×3, first 2 shown]
	s_wait_alu 0xfffd
	v_cndmask_b32_e32 v32, v65, v32, vcc_lo
	v_cmp_ne_u32_e32 vcc_lo, 0, v4
	v_lshrrev_b32_e32 v18, 8, v5
	v_bfe_u32 v19, v5, 20, 11
	v_and_or_b32 v23, 0x8000, v15, v14
	v_cvt_f32_f16_e32 v14, v20
	s_wait_alu 0xfffd
	v_cndmask_b32_e64 v4, 0, 1, vcc_lo
	v_or_b32_e32 v16, v100, v67
	v_lshl_or_b32 v17, v68, 12, v6
	v_cmp_gt_i32_e32 vcc_lo, 1, v68
	v_cvt_f64_f32_e32 v[14:15], v14
	v_and_or_b32 v22, 0xffe, v18, v4
	v_sub_nc_u32_e32 v4, 0x3f1, v19
	v_lshl_or_b32 v24, v27, 16, v24
	s_wait_alu 0xfffd
	v_dual_cndmask_b32 v20, v17, v16 :: v_dual_and_b32 v23, 0xffff, v23
	v_mad_co_u64_u32 v[16:17], null, s21, v40, v[21:22]
	v_mul_f64_e32 v[17:18], s[28:29], v[49:50]
	v_lshrrev_b32_e32 v21, 16, v33
	v_or_b32_e32 v26, 0x1000, v22
	v_med3_i32 v27, v4, 0, 13
	v_and_b32_e32 v25, 7, v20
	v_lshrrev_b32_e32 v20, 2, v20
	v_and_or_b32 v21, 0x8000, v21, v32
	v_mov_b32_e32 v4, v16
	v_lshrrev_b32_e32 v16, v27, v26
	v_cmp_lt_i32_e32 vcc_lo, 5, v25
	v_cmp_eq_u32_e64 s0, 3, v25
	v_lshl_or_b32 v21, v21, 16, v23
	v_add_nc_u32_e32 v25, 0xfffffc10, v19
	v_lshlrev_b32_e32 v23, v27, v16
	v_lshlrev_b64_e32 v[3:4], 2, v[3:4]
	s_or_b32 vcc_lo, s0, vcc_lo
	s_wait_loadcnt 0x3
	v_lshrrev_b32_e32 v27, 16, v13
	s_wait_alu 0xfffe
	v_add_co_ci_u32_e32 v20, vcc_lo, 0, v20, vcc_lo
	v_cmp_ne_u32_e32 vcc_lo, v23, v26
	v_lshl_or_b32 v19, v25, 12, v22
	global_store_b32 v[0:1], v24, off
	s_wait_alu 0xfffd
	v_cndmask_b32_e64 v23, 0, 1, vcc_lo
	v_cmp_gt_i32_e32 vcc_lo, 31, v68
	s_delay_alu instid0(VALU_DEP_2)
	v_or_b32_e32 v16, v16, v23
	s_wait_alu 0xfffd
	v_cndmask_b32_e32 v26, 0x7c00, v20, vcc_lo
	v_cmp_ne_u32_e32 vcc_lo, 0, v6
	v_lshrrev_b32_e32 v23, 16, v2
	v_mul_f64_e32 v[14:15], s[28:29], v[14:15]
	s_wait_alu 0xfffd
	v_cndmask_b32_e64 v6, 0, 1, vcc_lo
	v_cmp_gt_i32_e32 vcc_lo, 1, v25
	v_mul_f16_e32 v28, v23, v27
	s_delay_alu instid0(VALU_DEP_3)
	v_lshl_or_b32 v6, v6, 9, 0x7c00
	s_wait_alu 0xfffd
	v_cndmask_b32_e32 v16, v19, v16, vcc_lo
	v_add_co_u32 v19, vcc_lo, v8, v3
	s_wait_alu 0xfffd
	v_add_co_ci_u32_e32 v20, vcc_lo, v9, v4, vcc_lo
	v_and_or_b32 v4, 0x1ff, v18, v17
	v_and_b32_e32 v3, 7, v16
	v_cmp_eq_u32_e32 vcc_lo, 0x40f, v68
	v_fmac_f16_e32 v28, v2, v13
	v_mul_f16_e32 v2, v2, v27
	v_cmp_ne_u32_e64 s1, 0, v4
	v_cmp_eq_u32_e64 s0, 3, v3
	s_wait_alu 0xfffd
	v_cndmask_b32_e32 v6, v26, v6, vcc_lo
	v_cmp_lt_i32_e32 vcc_lo, 5, v3
	v_lshrrev_b32_e32 v3, 2, v16
	v_cvt_f32_f16_e32 v16, v28
	s_wait_alu 0xf1ff
	v_cndmask_b32_e64 v4, 0, 1, s1
	v_lshrrev_b32_e32 v26, 8, v18
	v_bfe_u32 v28, v18, 20, 11
	s_or_b32 vcc_lo, s0, vcc_lo
	v_cvt_f64_f32_e32 v[16:17], v16
	s_wait_alu 0xfffe
	v_add_co_ci_u32_e32 v29, vcc_lo, 0, v3, vcc_lo
	v_and_or_b32 v26, 0xffe, v26, v4
	v_sub_nc_u32_e32 v4, 0x3f1, v28
	v_cmp_ne_u32_e32 vcc_lo, 0, v22
	v_fma_f16 v2, v13, v23, -v2
	global_load_b32 v3, v38, s[24:25] offset:4224
	v_or_b32_e32 v27, 0x1000, v26
	v_med3_i32 v4, v4, 0, 13
	s_wait_alu 0xfffd
	v_cndmask_b32_e64 v22, 0, 1, vcc_lo
	v_cmp_gt_i32_e32 vcc_lo, 31, v25
	v_cvt_f32_f16_e32 v2, v2
	v_and_or_b32 v14, 0x1ff, v15, v14
	v_lshrrev_b32_e32 v23, v4, v27
	v_lshl_or_b32 v22, v22, 9, 0x7c00
	s_wait_alu 0xfffd
	v_cndmask_b32_e32 v13, 0x7c00, v29, vcc_lo
	v_cmp_eq_u32_e32 vcc_lo, 0x40f, v25
	global_store_b32 v[19:20], v21, off
	v_lshlrev_b32_e32 v25, v4, v23
	s_wait_alu 0xfffd
	v_cndmask_b32_e32 v13, v13, v22, vcc_lo
	v_lshrrev_b32_e32 v22, 16, v5
	s_delay_alu instid0(VALU_DEP_3)
	v_cmp_ne_u32_e32 vcc_lo, v25, v27
	v_cvt_f64_f32_e32 v[4:5], v2
	v_and_or_b32 v2, 0x8000, v7, v6
	v_bfe_u32 v25, v15, 20, 11
	v_and_or_b32 v22, 0x8000, v22, v13
	s_wait_alu 0xfffd
	v_cndmask_b32_e64 v6, 0, 1, vcc_lo
	v_cmp_ne_u32_e32 vcc_lo, 0, v14
	v_lshrrev_b32_e32 v13, 8, v15
	v_add_nc_u32_e32 v27, 0xfffffc10, v28
	v_add_nc_u32_e32 v14, 0xc00, v38
	v_or_b32_e32 v23, v23, v6
	s_wait_alu 0xfffd
	v_cndmask_b32_e64 v7, 0, 1, vcc_lo
	v_add_nc_u32_e32 v21, 0xfffffc10, v25
	v_lshl_or_b32 v29, v27, 12, v26
	v_cmp_gt_i32_e32 vcc_lo, 1, v27
	v_lshrrev_b32_e32 v15, 16, v15
	v_and_or_b32 v28, 0xffe, v13, v7
	v_sub_nc_u32_e32 v13, 0x3f1, v25
	v_mul_f64_e32 v[6:7], s[28:29], v[16:17]
	s_wait_alu 0xfffd
	v_cndmask_b32_e32 v23, v29, v23, vcc_lo
	v_mad_co_u64_u32 v[16:17], null, 0x300, s20, v[0:1]
	v_or_b32_e32 v30, 0x1000, v28
	v_med3_i32 v31, v13, 0, 13
	s_delay_alu instid0(VALU_DEP_4)
	v_and_b32_e32 v0, 7, v23
	ds_load_2addr_b32 v[13:14], v14 offset1:96
	v_lshrrev_b32_e32 v19, 2, v23
	s_wait_loadcnt 0x3
	v_lshrrev_b32_e32 v29, 16, v10
	v_lshrrev_b32_e32 v24, v31, v30
	v_cmp_lt_i32_e32 vcc_lo, 5, v0
	v_cmp_eq_u32_e64 s0, 3, v0
	s_clause 0x1
	global_load_b32 v23, v38, s[24:25] offset:4608
	global_load_b32 v25, v38, s[24:25] offset:4992
	v_add_nc_u32_e32 v17, s3, v17
	v_lshlrev_b32_e32 v1, v31, v24
	s_or_b32 vcc_lo, s0, vcc_lo
	s_delay_alu instid0(VALU_DEP_1)
	v_cmp_ne_u32_e64 s1, v1, v30
	v_mul_f64_e32 v[0:1], s[28:29], v[4:5]
	s_wait_alu 0xfffe
	v_add_co_ci_u32_e32 v4, vcc_lo, 0, v19, vcc_lo
	v_cmp_gt_i32_e32 vcc_lo, 31, v27
	s_wait_alu 0xf1ff
	v_cndmask_b32_e64 v20, 0, 1, s1
	v_lshl_or_b32 v19, v21, 12, v28
	v_cmp_eq_u32_e64 s1, 0x40f, v27
	v_lshrrev_b32_e32 v27, 16, v18
	s_delay_alu instid0(VALU_DEP_4)
	v_or_b32_e32 v5, v24, v20
	s_wait_alu 0xfffd
	v_cndmask_b32_e32 v24, 0x7c00, v4, vcc_lo
	v_cmp_gt_i32_e32 vcc_lo, 1, v21
	s_wait_alu 0xfffd
	v_dual_cndmask_b32 v19, v19, v5 :: v_dual_and_b32 v2, 0xffff, v2
	s_delay_alu instid0(VALU_DEP_1)
	v_lshl_or_b32 v2, v22, 16, v2
	s_wait_dscnt 0x0
	v_lshrrev_b32_e32 v22, 16, v13
	v_and_or_b32 v4, 0x1ff, v7, v6
	v_cmp_ne_u32_e32 vcc_lo, 0, v26
	v_and_b32_e32 v26, 7, v19
	v_lshrrev_b32_e32 v30, 8, v7
	v_mul_f16_e32 v20, v22, v29
	v_bfe_u32 v31, v7, 20, 11
	s_wait_alu 0xfffd
	v_cndmask_b32_e64 v6, 0, 1, vcc_lo
	v_cmp_ne_u32_e32 vcc_lo, 0, v4
	v_cmp_eq_u32_e64 s0, 3, v26
	v_fmac_f16_e32 v20, v13, v10
	v_lshrrev_b32_e32 v19, 2, v19
	v_lshl_or_b32 v6, v6, 9, 0x7c00
	v_mul_f16_e32 v13, v13, v29
	global_store_b32 v[16:17], v2, off
	v_cvt_f32_f16_e32 v5, v20
	s_wait_alu 0xfffd
	v_cndmask_b32_e64 v20, 0, 1, vcc_lo
	v_cmp_lt_i32_e32 vcc_lo, 5, v26
	v_sub_nc_u32_e32 v26, 0x3f1, v31
	s_wait_alu 0xf1ff
	v_cndmask_b32_e64 v6, v24, v6, s1
	v_cvt_f64_f32_e32 v[4:5], v5
	v_and_or_b32 v20, 0xffe, v30, v20
	s_or_b32 vcc_lo, s0, vcc_lo
	v_med3_i32 v26, v26, 0, 13
	s_wait_alu 0xfffe
	v_add_co_ci_u32_e32 v19, vcc_lo, 0, v19, vcc_lo
	v_or_b32_e32 v24, 0x1000, v20
	v_cmp_gt_i32_e32 vcc_lo, 31, v21
	v_and_or_b32 v0, 0x1ff, v1, v0
	v_bfe_u32 v29, v1, 20, 11
	v_fma_f16 v10, v10, v22, -v13
	v_lshrrev_b32_e32 v18, v26, v24
	s_wait_alu 0xfffd
	v_cndmask_b32_e32 v30, 0x7c00, v19, vcc_lo
	v_cmp_ne_u32_e32 vcc_lo, 0, v28
	v_lshrrev_b32_e32 v28, 8, v1
	v_sub_nc_u32_e32 v13, 0x3f1, v29
	v_lshlrev_b32_e32 v26, v26, v18
	v_cvt_f32_f16_e32 v10, v10
	s_wait_alu 0xfffd
	v_cndmask_b32_e64 v19, 0, 1, vcc_lo
	v_cmp_ne_u32_e32 vcc_lo, 0, v0
	v_med3_i32 v13, v13, 0, 13
	v_and_or_b32 v6, 0x8000, v27, v6
	v_lshrrev_b32_e32 v1, 16, v1
	s_wait_alu 0xfffd
	v_cndmask_b32_e64 v0, 0, 1, vcc_lo
	v_cmp_ne_u32_e32 vcc_lo, v26, v24
	v_add_nc_u32_e32 v26, 0xfffffc10, v31
	v_lshl_or_b32 v31, v19, 9, 0x7c00
	v_and_b32_e32 v6, 0xffff, v6
	v_and_or_b32 v0, 0xffe, v28, v0
	s_wait_alu 0xfffd
	v_cndmask_b32_e64 v24, 0, 1, vcc_lo
	v_cmp_gt_i32_e32 vcc_lo, 1, v26
	s_delay_alu instid0(VALU_DEP_3) | instskip(NEXT) | instid1(VALU_DEP_3)
	v_or_b32_e32 v28, 0x1000, v0
	v_or_b32_e32 v22, v18, v24
	v_lshl_or_b32 v24, v26, 12, v20
	v_cvt_f64_f32_e32 v[18:19], v10
	v_mul_f64_e32 v[4:5], s[28:29], v[4:5]
	s_wait_alu 0xfffd
	s_delay_alu instid0(VALU_DEP_3) | instskip(SKIP_2) | instid1(VALU_DEP_3)
	v_cndmask_b32_e32 v10, v24, v22, vcc_lo
	v_lshrrev_b32_e32 v22, v13, v28
	v_cmp_eq_u32_e32 vcc_lo, 0x40f, v21
	v_and_b32_e32 v24, 7, v10
	s_delay_alu instid0(VALU_DEP_3) | instskip(SKIP_2) | instid1(VALU_DEP_3)
	v_lshlrev_b32_e32 v13, v13, v22
	s_wait_alu 0xfffd
	v_cndmask_b32_e32 v21, v30, v31, vcc_lo
	v_cmp_lt_i32_e32 vcc_lo, 5, v24
	s_delay_alu instid0(VALU_DEP_3) | instskip(NEXT) | instid1(VALU_DEP_3)
	v_cmp_ne_u32_e64 s0, v13, v28
	v_and_or_b32 v2, 0x8000, v15, v21
	v_add_nc_u32_e32 v15, 0xfffffc10, v29
	v_lshrrev_b32_e32 v29, 16, v7
	s_wait_alu 0xf1ff
	v_cndmask_b32_e64 v13, 0, 1, s0
	v_cmp_eq_u32_e64 s0, 3, v24
	v_lshl_or_b32 v2, v2, 16, v6
	v_lshrrev_b32_e32 v6, 2, v10
	s_delay_alu instid0(VALU_DEP_4) | instskip(NEXT) | instid1(VALU_DEP_4)
	v_or_b32_e32 v10, v22, v13
	s_or_b32 vcc_lo, s0, vcc_lo
	v_lshl_or_b32 v13, v15, 12, v0
	s_wait_alu 0xfffe
	v_add_co_ci_u32_e32 v6, vcc_lo, 0, v6, vcc_lo
	v_cmp_ne_u32_e32 vcc_lo, 0, v20
	s_wait_loadcnt 0x4
	v_lshrrev_b32_e32 v22, 16, v11
	s_wait_alu 0xfffd
	v_cndmask_b32_e64 v20, 0, 1, vcc_lo
	v_cmp_gt_i32_e32 vcc_lo, 1, v15
	v_mul_f64_e32 v[18:19], s[28:29], v[18:19]
	v_and_or_b32 v4, 0x1ff, v5, v4
	s_delay_alu instid0(VALU_DEP_4)
	v_lshl_or_b32 v20, v20, 9, 0x7c00
	s_wait_alu 0xfffd
	v_cndmask_b32_e32 v10, v13, v10, vcc_lo
	v_lshrrev_b32_e32 v13, 16, v14
	v_cmp_gt_i32_e32 vcc_lo, 31, v26
	v_cmp_ne_u32_e64 s0, 0, v4
	s_delay_alu instid0(VALU_DEP_4) | instskip(NEXT) | instid1(VALU_DEP_4)
	v_and_b32_e32 v21, 7, v10
	v_mul_f16_e32 v24, v13, v22
	s_wait_alu 0xfffd
	v_cndmask_b32_e32 v6, 0x7c00, v6, vcc_lo
	v_cmp_eq_u32_e32 vcc_lo, 0x40f, v26
	s_wait_alu 0xf1ff
	v_cndmask_b32_e64 v4, 0, 1, s0
	v_cmp_eq_u32_e64 s0, 3, v21
	v_fmac_f16_e32 v24, v14, v11
	v_lshrrev_b32_e32 v10, 2, v10
	s_wait_alu 0xfffd
	v_cndmask_b32_e32 v26, v6, v20, vcc_lo
	v_cmp_lt_i32_e32 vcc_lo, 5, v21
	v_lshrrev_b32_e32 v6, 8, v5
	v_cvt_f32_f16_e32 v20, v24
	v_bfe_u32 v24, v5, 20, 11
	s_or_b32 vcc_lo, s0, vcc_lo
	s_delay_alu instid0(VALU_DEP_3)
	v_and_or_b32 v4, 0xffe, v6, v4
	s_wait_alu 0xfffe
	v_add_co_ci_u32_e32 v10, vcc_lo, 0, v10, vcc_lo
	v_cvt_f64_f32_e32 v[20:21], v20
	v_cmp_ne_u32_e32 vcc_lo, 0, v0
	v_sub_nc_u32_e32 v6, 0x3f1, v24
	v_or_b32_e32 v27, 0x1000, v4
	s_wait_alu 0xfffd
	v_cndmask_b32_e64 v0, 0, 1, vcc_lo
	v_cmp_gt_i32_e32 vcc_lo, 31, v15
	v_med3_i32 v28, v6, 0, 13
	s_delay_alu instid0(VALU_DEP_3)
	v_lshl_or_b32 v0, v0, 9, 0x7c00
	s_wait_alu 0xfffd
	v_cndmask_b32_e32 v10, 0x7c00, v10, vcc_lo
	v_add_co_u32 v6, vcc_lo, v16, s26
	s_wait_alu 0xfffd
	v_add_co_ci_u32_e32 v7, vcc_lo, s27, v17, vcc_lo
	v_lshrrev_b32_e32 v30, v28, v27
	v_cmp_eq_u32_e32 vcc_lo, 0x40f, v15
	v_and_or_b32 v16, 0x8000, v29, v26
	s_wait_alu 0xfffd
	s_delay_alu instid0(VALU_DEP_3)
	v_dual_cndmask_b32 v0, v10, v0 :: v_dual_lshlrev_b32 v17, v28, v30
	v_mul_f16_e32 v10, v14, v22
	v_lshrrev_b32_e32 v22, 8, v19
	s_wait_loadcnt 0x3
	v_lshrrev_b32_e32 v28, 16, v12
	v_cmp_ne_u32_e32 vcc_lo, v17, v27
	v_add_nc_u32_e32 v17, 0xfffffc10, v24
	v_fma_f16 v10, v11, v13, -v10
	v_and_or_b32 v11, 0x1ff, v19, v18
	v_and_or_b32 v15, 0x8000, v1, v0
	s_wait_alu 0xfffd
	v_cndmask_b32_e64 v14, 0, 1, vcc_lo
	v_bfe_u32 v24, v19, 20, 11
	v_cvt_f32_f16_e32 v0, v10
	v_cmp_ne_u32_e32 vcc_lo, 0, v11
	v_lshrrev_b32_e32 v19, 16, v19
	v_or_b32_e32 v13, v30, v14
	v_lshl_or_b32 v14, v17, 12, v4
	v_cvt_f64_f32_e32 v[0:1], v0
	s_wait_alu 0xfffd
	v_cndmask_b32_e64 v18, 0, 1, vcc_lo
	v_cmp_gt_i32_e32 vcc_lo, 1, v17
	v_mul_f64_e32 v[10:11], s[28:29], v[20:21]
	v_sub_nc_u32_e32 v21, 0x3f1, v24
	v_add_nc_u32_e32 v24, 0xfffffc10, v24
	v_and_or_b32 v18, 0xffe, v22, v18
	s_wait_alu 0xfffd
	v_dual_cndmask_b32 v20, v14, v13 :: v_dual_add_nc_u32 v13, 0xe00, v38
	v_med3_i32 v21, v21, 0, 13
	v_lshrrev_b32_e32 v30, 16, v5
	v_or_b32_e32 v26, 0x1000, v18
	s_delay_alu instid0(VALU_DEP_4)
	v_and_b32_e32 v22, 7, v20
	ds_load_2addr_b32 v[13:14], v13 offset0:64 offset1:160
	v_lshrrev_b32_e32 v20, 2, v20
	v_and_b32_e32 v16, 0xffff, v16
	v_cmp_lt_i32_e32 vcc_lo, 5, v22
	v_cmp_eq_u32_e64 s0, 3, v22
	v_lshrrev_b32_e32 v22, v21, v26
	s_delay_alu instid0(VALU_DEP_4) | instskip(SKIP_1) | instid1(VALU_DEP_4)
	v_lshl_or_b32 v27, v15, 16, v16
	v_add_co_u32 v15, s1, v6, s26
	s_or_b32 vcc_lo, s0, vcc_lo
	s_delay_alu instid0(VALU_DEP_3)
	v_lshlrev_b32_e32 v21, v21, v22
	s_wait_alu 0xfffe
	v_add_co_ci_u32_e32 v20, vcc_lo, 0, v20, vcc_lo
	v_cmp_ne_u32_e32 vcc_lo, 0, v4
	v_add_co_ci_u32_e64 v16, s1, s27, v7, s1
	global_store_b32 v[6:7], v2, off
	global_store_b32 v[15:16], v27, off
	s_wait_alu 0xfffd
	v_cndmask_b32_e64 v4, 0, 1, vcc_lo
	v_cmp_ne_u32_e32 vcc_lo, v21, v26
	s_wait_dscnt 0x0
	v_lshrrev_b32_e32 v26, 16, v13
	s_delay_alu instid0(VALU_DEP_3)
	v_lshl_or_b32 v4, v4, 9, 0x7c00
	s_wait_alu 0xfffd
	v_cndmask_b32_e64 v21, 0, 1, vcc_lo
	v_cmp_gt_i32_e32 vcc_lo, 31, v17
	v_mul_f16_e32 v29, v26, v28
	v_mul_f64_e32 v[0:1], s[28:29], v[0:1]
	v_and_or_b32 v10, 0x1ff, v11, v10
	v_or_b32_e32 v21, v22, v21
	s_wait_alu 0xfffd
	v_cndmask_b32_e32 v20, 0x7c00, v20, vcc_lo
	v_cmp_eq_u32_e32 vcc_lo, 0x40f, v17
	v_lshl_or_b32 v22, v24, 12, v18
	v_fmac_f16_e32 v29, v13, v12
	v_mul_f16_e32 v13, v13, v28
	s_wait_alu 0xfffd
	v_cndmask_b32_e32 v17, v20, v4, vcc_lo
	v_cmp_gt_i32_e32 vcc_lo, 1, v24
	v_cvt_f32_f16_e32 v4, v29
	v_fma_f16 v12, v12, v26, -v13
	s_delay_alu instid0(VALU_DEP_4)
	v_and_or_b32 v17, 0x8000, v30, v17
	s_wait_alu 0xfffd
	v_cndmask_b32_e32 v20, v22, v21, vcc_lo
	v_cmp_ne_u32_e32 vcc_lo, 0, v10
	v_cvt_f64_f32_e32 v[4:5], v4
	v_lshrrev_b32_e32 v21, 8, v11
	v_bfe_u32 v22, v11, 20, 11
	v_and_b32_e32 v29, 7, v20
	s_wait_alu 0xfffd
	v_cndmask_b32_e64 v10, 0, 1, vcc_lo
	v_lshrrev_b32_e32 v20, 2, v20
	v_cvt_f32_f16_e32 v12, v12
	v_and_b32_e32 v17, 0xffff, v17
	v_cmp_lt_i32_e32 vcc_lo, 5, v29
	v_cmp_eq_u32_e64 s0, 3, v29
	v_and_or_b32 v10, 0xffe, v21, v10
	v_sub_nc_u32_e32 v21, 0x3f1, v22
	s_delay_alu instid0(VALU_DEP_3) | instskip(NEXT) | instid1(VALU_DEP_2)
	s_or_b32 vcc_lo, s0, vcc_lo
	v_or_b32_e32 v29, 0x1000, v10
	s_wait_alu 0xfffe
	v_add_co_ci_u32_e32 v20, vcc_lo, 0, v20, vcc_lo
	v_med3_i32 v21, v21, 0, 13
	v_cmp_ne_u32_e32 vcc_lo, 0, v18
	v_and_or_b32 v0, 0x1ff, v1, v0
	s_delay_alu instid0(VALU_DEP_3) | instskip(SKIP_3) | instid1(VALU_DEP_2)
	v_lshrrev_b32_e32 v28, v21, v29
	s_wait_alu 0xfffd
	v_cndmask_b32_e64 v18, 0, 1, vcc_lo
	v_cmp_gt_i32_e32 vcc_lo, 31, v24
	v_lshl_or_b32 v18, v18, 9, 0x7c00
	s_wait_alu 0xfffd
	v_cndmask_b32_e32 v13, 0x7c00, v20, vcc_lo
	v_lshlrev_b32_e32 v20, v21, v28
	v_cmp_eq_u32_e32 vcc_lo, 0x40f, v24
	v_add_nc_u32_e32 v21, 0xfffffc10, v22
	v_lshrrev_b32_e32 v22, 8, v1
	s_wait_alu 0xfffd
	v_cndmask_b32_e32 v18, v13, v18, vcc_lo
	v_cmp_ne_u32_e32 vcc_lo, v20, v29
	v_cvt_f64_f32_e32 v[12:13], v12
	v_mul_f64_e32 v[4:5], s[28:29], v[4:5]
	v_lshl_or_b32 v24, v21, 12, v10
	v_and_or_b32 v18, 0x8000, v19, v18
	s_wait_alu 0xfffd
	v_cndmask_b32_e64 v20, 0, 1, vcc_lo
	v_cmp_ne_u32_e32 vcc_lo, 0, v0
	v_bfe_u32 v19, v1, 20, 11
	v_lshl_or_b32 v17, v18, 16, v17
	s_delay_alu instid0(VALU_DEP_4) | instskip(SKIP_3) | instid1(VALU_DEP_2)
	v_or_b32_e32 v20, v28, v20
	s_wait_alu 0xfffd
	v_cndmask_b32_e64 v0, 0, 1, vcc_lo
	v_cmp_gt_i32_e32 vcc_lo, 1, v21
	v_and_or_b32 v0, 0xffe, v22, v0
	v_sub_nc_u32_e32 v22, 0x3f1, v19
	s_wait_alu 0xfffd
	v_cndmask_b32_e32 v20, v24, v20, vcc_lo
	v_add_co_u32 v6, vcc_lo, v15, s26
	v_or_b32_e32 v24, 0x1000, v0
	v_med3_i32 v22, v22, 0, 13
	s_delay_alu instid0(VALU_DEP_4)
	v_and_b32_e32 v2, 7, v20
	s_wait_alu 0xfffd
	v_add_co_ci_u32_e32 v7, vcc_lo, s27, v16, vcc_lo
	v_add_nc_u32_e32 v19, 0xfffffc10, v19
	v_lshrrev_b32_e32 v18, v22, v24
	v_cmp_lt_i32_e32 vcc_lo, 5, v2
	v_cmp_eq_u32_e64 s0, 3, v2
	v_lshrrev_b32_e32 v2, 2, v20
	v_lshrrev_b32_e32 v20, 16, v14
	v_lshlrev_b32_e32 v15, v22, v18
	s_wait_loadcnt 0x2
	v_lshrrev_b32_e32 v22, 16, v3
	s_or_b32 vcc_lo, s0, vcc_lo
	global_store_b32 v[6:7], v17, off
	s_wait_alu 0xfffe
	v_add_co_ci_u32_e32 v2, vcc_lo, 0, v2, vcc_lo
	v_cmp_ne_u32_e64 s1, v15, v24
	v_mul_f64_e32 v[12:13], s[28:29], v[12:13]
	v_mul_f16_e32 v16, v20, v22
	v_cmp_ne_u32_e32 vcc_lo, 0, v10
	v_and_or_b32 v4, 0x1ff, v5, v4
	s_wait_alu 0xf1ff
	v_cndmask_b32_e64 v15, 0, 1, s1
	v_lshrrev_b32_e32 v26, 8, v5
	v_fmac_f16_e32 v16, v14, v3
	s_wait_alu 0xfffd
	v_cndmask_b32_e64 v10, 0, 1, vcc_lo
	v_cmp_gt_i32_e32 vcc_lo, 1, v19
	v_or_b32_e32 v15, v18, v15
	v_lshl_or_b32 v18, v19, 12, v0
	v_bfe_u32 v27, v5, 20, 11
	v_lshl_or_b32 v10, v10, 9, 0x7c00
	v_mul_f16_e32 v14, v14, v22
	v_lshrrev_b32_e32 v5, 16, v5
	s_wait_alu 0xfffd
	v_cndmask_b32_e32 v18, v18, v15, vcc_lo
	v_cvt_f32_f16_e32 v15, v16
	v_cmp_gt_i32_e32 vcc_lo, 31, v21
	v_fma_f16 v3, v3, v20, -v14
	s_delay_alu instid0(VALU_DEP_4) | instskip(NEXT) | instid1(VALU_DEP_4)
	v_and_b32_e32 v24, 7, v18
	v_cvt_f64_f32_e32 v[15:16], v15
	s_wait_alu 0xfffd
	v_cndmask_b32_e32 v2, 0x7c00, v2, vcc_lo
	v_cmp_ne_u32_e32 vcc_lo, 0, v4
	v_cmp_eq_u32_e64 s0, 3, v24
	s_wait_alu 0xfffd
	v_cndmask_b32_e64 v4, 0, 1, vcc_lo
	v_cmp_eq_u32_e32 vcc_lo, 0x40f, v21
	s_delay_alu instid0(VALU_DEP_2)
	v_and_or_b32 v4, 0xffe, v26, v4
	s_wait_alu 0xfffd
	v_cndmask_b32_e32 v21, v2, v10, vcc_lo
	v_cmp_lt_i32_e32 vcc_lo, 5, v24
	v_lshrrev_b32_e32 v10, 2, v18
	v_sub_nc_u32_e32 v2, 0x3f1, v27
	v_lshrrev_b32_e32 v24, 16, v11
	v_or_b32_e32 v11, 0x1000, v4
	s_or_b32 vcc_lo, s0, vcc_lo
	v_and_or_b32 v12, 0x1ff, v13, v12
	s_wait_alu 0xfffe
	v_add_co_ci_u32_e32 v10, vcc_lo, 0, v10, vcc_lo
	v_med3_i32 v2, v2, 0, 13
	v_cmp_ne_u32_e32 vcc_lo, 0, v0
	v_bfe_u32 v20, v13, 20, 11
	v_add_nc_u32_e32 v26, 0xfffffc10, v27
	s_delay_alu instid0(VALU_DEP_4) | instskip(SKIP_3) | instid1(VALU_DEP_3)
	v_lshrrev_b32_e32 v18, v2, v11
	s_wait_alu 0xfffd
	v_cndmask_b32_e64 v0, 0, 1, vcc_lo
	v_cmp_gt_i32_e32 vcc_lo, 31, v19
	v_lshlrev_b32_e32 v2, v2, v18
	s_delay_alu instid0(VALU_DEP_3)
	v_lshl_or_b32 v0, v0, 9, 0x7c00
	s_wait_alu 0xfffd
	v_cndmask_b32_e32 v22, 0x7c00, v10, vcc_lo
	v_cmp_ne_u32_e32 vcc_lo, 0, v12
	v_lshrrev_b32_e32 v12, 8, v13
	s_wait_alu 0xfffd
	v_cndmask_b32_e64 v10, 0, 1, vcc_lo
	v_cmp_ne_u32_e32 vcc_lo, v2, v11
	v_cvt_f32_f16_e32 v11, v3
	v_mul_f64_e32 v[2:3], s[28:29], v[15:16]
	v_sub_nc_u32_e32 v15, 0x3f1, v20
	v_and_or_b32 v12, 0xffe, v12, v10
	s_wait_alu 0xfffd
	v_cndmask_b32_e64 v14, 0, 1, vcc_lo
	v_cvt_f64_f32_e32 v[10:11], v11
	v_cmp_eq_u32_e32 vcc_lo, 0x40f, v19
	v_med3_i32 v15, v15, 0, 13
	s_wait_alu 0xfffd
	v_dual_cndmask_b32 v16, v22, v0 :: v_dual_add_nc_u32 v19, 0x1000, v38
	v_or_b32_e32 v0, v18, v14
	v_lshl_or_b32 v14, v26, 12, v4
	v_cmp_gt_i32_e32 vcc_lo, 1, v26
	v_or_b32_e32 v18, 0x1000, v12
	v_lshrrev_b32_e32 v22, 16, v1
	s_wait_alu 0xfffd
	v_cndmask_b32_e32 v14, v14, v0, vcc_lo
	s_delay_alu instid0(VALU_DEP_3)
	v_lshrrev_b32_e32 v27, v15, v18
	ds_load_2addr_b32 v[0:1], v19 offset0:128 offset1:224
	v_and_or_b32 v19, 0x8000, v24, v21
	v_and_or_b32 v16, 0x8000, v22, v16
	v_and_b32_e32 v21, 7, v14
	v_lshlrev_b32_e32 v15, v15, v27
	v_lshrrev_b32_e32 v14, 2, v14
	v_and_b32_e32 v17, 0xffff, v19
	s_delay_alu instid0(VALU_DEP_4)
	v_cmp_lt_i32_e32 vcc_lo, 5, v21
	v_cmp_eq_u32_e64 s0, 3, v21
	v_cmp_ne_u32_e64 s1, v15, v18
	v_add_nc_u32_e32 v18, 0xfffffc10, v20
	s_wait_loadcnt 0x1
	v_lshrrev_b32_e32 v21, 16, v23
	s_or_b32 vcc_lo, s0, vcc_lo
	v_cndmask_b32_e64 v15, 0, 1, s1
	s_wait_alu 0xfffe
	v_add_co_ci_u32_e32 v14, vcc_lo, 0, v14, vcc_lo
	v_cmp_ne_u32_e32 vcc_lo, 0, v4
	v_lshl_or_b32 v19, v18, 12, v12
	v_or_b32_e32 v15, v27, v15
	s_wait_dscnt 0x0
	v_lshrrev_b32_e32 v20, 16, v0
	v_and_or_b32 v2, 0x1ff, v3, v2
	s_wait_alu 0xfffd
	v_cndmask_b32_e64 v4, 0, 1, vcc_lo
	v_cmp_gt_i32_e32 vcc_lo, 1, v18
	v_mul_f64_e32 v[10:11], s[28:29], v[10:11]
	v_lshrrev_b32_e32 v24, 8, v3
	v_bfe_u32 v27, v3, 20, 11
	v_lshl_or_b32 v4, v4, 9, 0x7c00
	s_wait_alu 0xfffd
	v_cndmask_b32_e32 v19, v19, v15, vcc_lo
	v_cmp_gt_i32_e32 vcc_lo, 31, v26
	v_mul_f16_e32 v15, v20, v21
	v_lshrrev_b32_e32 v3, 16, v3
	s_delay_alu instid0(VALU_DEP_4)
	v_and_b32_e32 v22, 7, v19
	s_wait_alu 0xfffd
	v_cndmask_b32_e32 v14, 0x7c00, v14, vcc_lo
	v_cmp_ne_u32_e32 vcc_lo, 0, v2
	v_fmac_f16_e32 v15, v0, v23
	v_lshrrev_b32_e32 v19, 2, v19
	v_cmp_eq_u32_e64 s0, 3, v22
	v_mul_f16_e32 v0, v0, v21
	s_wait_alu 0xfffd
	v_cndmask_b32_e64 v2, 0, 1, vcc_lo
	v_cmp_eq_u32_e32 vcc_lo, 0x40f, v26
	v_cvt_f32_f16_e32 v15, v15
	v_fma_f16 v0, v23, v20, -v0
	s_delay_alu instid0(VALU_DEP_4)
	v_and_or_b32 v2, 0xffe, v24, v2
	s_wait_alu 0xfffd
	v_cndmask_b32_e32 v4, v14, v4, vcc_lo
	v_cmp_lt_i32_e32 vcc_lo, 5, v22
	v_cvt_f64_f32_e32 v[14:15], v15
	v_sub_nc_u32_e32 v24, 0x3f1, v27
	v_or_b32_e32 v22, 0x1000, v2
	v_and_or_b32 v21, 0x8000, v5, v4
	s_or_b32 vcc_lo, s0, vcc_lo
	v_cvt_f32_f16_e32 v0, v0
	s_wait_alu 0xfffe
	v_add_co_ci_u32_e32 v19, vcc_lo, 0, v19, vcc_lo
	v_med3_i32 v24, v24, 0, 13
	v_cmp_ne_u32_e32 vcc_lo, 0, v12
	v_lshrrev_b32_e32 v23, 16, v13
	s_delay_alu instid0(VALU_DEP_3)
	v_lshrrev_b32_e32 v26, v24, v22
	s_wait_alu 0xfffd
	v_cndmask_b32_e64 v12, 0, 1, vcc_lo
	v_cmp_gt_i32_e32 vcc_lo, 31, v18
	v_and_or_b32 v5, 0x1ff, v11, v10
	v_lshrrev_b32_e32 v20, 8, v11
	v_lshlrev_b32_e32 v4, v24, v26
	v_lshl_or_b32 v12, v12, 9, 0x7c00
	s_wait_alu 0xfffd
	v_cndmask_b32_e32 v19, 0x7c00, v19, vcc_lo
	v_cmp_eq_u32_e32 vcc_lo, 0x40f, v18
	s_wait_alu 0xfffd
	s_delay_alu instid0(VALU_DEP_2)
	v_cndmask_b32_e32 v18, v19, v12, vcc_lo
	v_cmp_ne_u32_e32 vcc_lo, v4, v22
	v_add_nc_u32_e32 v19, 0xfffffc10, v27
	s_wait_alu 0xfffd
	v_cndmask_b32_e64 v10, 0, 1, vcc_lo
	v_cmp_ne_u32_e32 vcc_lo, 0, v5
	v_cvt_f64_f32_e32 v[4:5], v0
	v_bfe_u32 v0, v11, 20, 11
	v_lshl_or_b32 v22, v19, 12, v2
	v_or_b32_e32 v10, v26, v10
	s_wait_alu 0xfffd
	v_cndmask_b32_e64 v12, 0, 1, vcc_lo
	v_cmp_gt_i32_e32 vcc_lo, 1, v19
	v_sub_nc_u32_e32 v24, 0x3f1, v0
	v_lshrrev_b32_e32 v11, 16, v11
	s_delay_alu instid0(VALU_DEP_4) | instskip(SKIP_1) | instid1(VALU_DEP_4)
	v_and_or_b32 v20, 0xffe, v20, v12
	v_mul_f64_e32 v[12:13], s[28:29], v[14:15]
	v_med3_i32 v15, v24, 0, 13
	s_wait_alu 0xfffd
	v_cndmask_b32_e32 v10, v22, v10, vcc_lo
	v_lshl_or_b32 v22, v16, 16, v17
	v_or_b32_e32 v14, 0x1000, v20
	v_and_b32_e32 v17, 0xffff, v21
	v_and_or_b32 v16, 0x8000, v23, v18
	v_and_b32_e32 v18, 7, v10
	v_add_co_u32 v6, vcc_lo, v6, s26
	v_lshrrev_b32_e32 v21, v15, v14
	s_wait_alu 0xfffd
	v_add_co_ci_u32_e32 v7, vcc_lo, s27, v7, vcc_lo
	v_cmp_lt_i32_e32 vcc_lo, 5, v18
	v_cmp_eq_u32_e64 s0, 3, v18
	v_lshlrev_b32_e32 v15, v15, v21
	v_lshrrev_b32_e32 v10, 2, v10
	v_lshl_or_b32 v23, v16, 16, v17
	v_add_nc_u32_e32 v16, 0xfffffc10, v0
	s_or_b32 vcc_lo, s0, vcc_lo
	v_cmp_ne_u32_e64 s1, v15, v14
	s_wait_alu 0xfffe
	v_add_co_ci_u32_e32 v0, vcc_lo, 0, v10, vcc_lo
	v_cmp_ne_u32_e32 vcc_lo, 0, v2
	v_lshrrev_b32_e32 v15, 16, v1
	s_wait_alu 0xf1ff
	v_cndmask_b32_e64 v14, 0, 1, s1
	s_wait_loadcnt 0x0
	v_lshrrev_b32_e32 v17, 16, v25
	s_wait_alu 0xfffd
	v_cndmask_b32_e64 v2, 0, 1, vcc_lo
	v_mul_f64_e32 v[4:5], s[28:29], v[4:5]
	v_or_b32_e32 v10, v21, v14
	v_lshl_or_b32 v14, v16, 12, v20
	v_cmp_gt_i32_e32 vcc_lo, 1, v16
	v_lshl_or_b32 v2, v2, 9, 0x7c00
	s_wait_alu 0xfffd
	s_delay_alu instid0(VALU_DEP_3) | instskip(SKIP_3) | instid1(VALU_DEP_4)
	v_cndmask_b32_e32 v10, v14, v10, vcc_lo
	v_mul_f16_e32 v14, v15, v17
	v_cmp_gt_i32_e32 vcc_lo, 31, v19
	v_and_or_b32 v12, 0x1ff, v13, v12
	v_and_b32_e32 v18, 7, v10
	s_delay_alu instid0(VALU_DEP_4)
	v_fmac_f16_e32 v14, v1, v25
	s_wait_alu 0xfffd
	v_cndmask_b32_e32 v0, 0x7c00, v0, vcc_lo
	v_mul_f16_e32 v1, v1, v17
	v_cmp_eq_u32_e32 vcc_lo, 0x40f, v19
	v_cmp_ne_u32_e64 s0, 0, v12
	v_lshrrev_b32_e32 v10, 2, v10
	v_bfe_u32 v17, v13, 20, 11
	s_wait_alu 0xfffd
	v_cndmask_b32_e32 v2, v0, v2, vcc_lo
	v_cvt_f32_f16_e32 v0, v14
	v_fma_f16 v14, v25, v15, -v1
	v_cmp_lt_i32_e32 vcc_lo, 5, v18
	s_wait_alu 0xf1ff
	v_cndmask_b32_e64 v12, 0, 1, s0
	v_lshrrev_b32_e32 v15, 8, v13
	v_cvt_f64_f32_e32 v[0:1], v0
	v_cvt_f32_f16_e32 v14, v14
	v_cmp_eq_u32_e64 s0, 3, v18
	v_sub_nc_u32_e32 v18, 0x3f1, v17
	v_and_or_b32 v12, 0xffe, v15, v12
	v_and_or_b32 v2, 0x8000, v3, v2
	v_cvt_f64_f32_e32 v[14:15], v14
	s_or_b32 vcc_lo, s0, vcc_lo
	v_med3_i32 v18, v18, 0, 13
	s_wait_alu 0xfffe
	v_add_co_ci_u32_e32 v10, vcc_lo, 0, v10, vcc_lo
	v_cmp_ne_u32_e32 vcc_lo, 0, v20
	v_or_b32_e32 v20, 0x1000, v12
	v_and_or_b32 v4, 0x1ff, v5, v4
	v_add_nc_u32_e32 v17, 0xfffffc10, v17
	v_and_b32_e32 v24, 0xffff, v2
	s_wait_alu 0xfffd
	v_cndmask_b32_e64 v19, 0, 1, vcc_lo
	v_cmp_gt_i32_e32 vcc_lo, 31, v16
	v_lshrrev_b32_e32 v21, v18, v20
	s_delay_alu instid0(VALU_DEP_3)
	v_lshl_or_b32 v19, v19, 9, 0x7c00
	s_wait_alu 0xfffd
	v_cndmask_b32_e32 v10, 0x7c00, v10, vcc_lo
	v_cmp_eq_u32_e32 vcc_lo, 0x40f, v16
	v_lshrrev_b32_e32 v16, 8, v5
	s_wait_alu 0xfffd
	s_delay_alu instid0(VALU_DEP_3)
	v_cndmask_b32_e32 v3, v10, v19, vcc_lo
	v_lshlrev_b32_e32 v10, v18, v21
	v_cmp_ne_u32_e32 vcc_lo, 0, v4
	v_bfe_u32 v18, v5, 20, 11
	v_lshl_or_b32 v19, v17, 12, v12
	v_lshrrev_b32_e32 v5, 16, v5
	s_wait_alu 0xfffd
	v_cndmask_b32_e64 v4, 0, 1, vcc_lo
	v_cmp_ne_u32_e32 vcc_lo, v10, v20
	v_mul_f64_e32 v[0:1], s[28:29], v[0:1]
	s_delay_alu instid0(VALU_DEP_3)
	v_and_or_b32 v4, 0xffe, v16, v4
	s_wait_alu 0xfffd
	v_cndmask_b32_e64 v10, 0, 1, vcc_lo
	v_cmp_gt_i32_e32 vcc_lo, 1, v17
	v_sub_nc_u32_e32 v16, 0x3f1, v18
	v_add_nc_u32_e32 v18, 0xfffffc10, v18
	v_or_b32_e32 v20, 0x1000, v4
	v_or_b32_e32 v10, v21, v10
	v_and_or_b32 v21, 0x8000, v11, v3
	v_mul_f64_e32 v[2:3], s[28:29], v[14:15]
	v_med3_i32 v16, v16, 0, 13
	s_wait_alu 0xfffd
	v_cndmask_b32_e32 v19, v19, v10, vcc_lo
	v_add_co_u32 v10, vcc_lo, v6, s26
	s_wait_alu 0xfffd
	v_add_co_ci_u32_e32 v11, vcc_lo, s27, v7, vcc_lo
	v_lshl_or_b32 v21, v21, 16, v24
	v_and_b32_e32 v24, 7, v19
	v_add_co_u32 v14, vcc_lo, v10, s26
	v_lshrrev_b32_e32 v25, v16, v20
	s_wait_alu 0xfffd
	v_add_co_ci_u32_e32 v15, vcc_lo, s27, v11, vcc_lo
	v_cmp_lt_i32_e32 vcc_lo, 5, v24
	v_cmp_eq_u32_e64 s0, 3, v24
	v_lshrrev_b32_e32 v19, 2, v19
	v_lshlrev_b32_e32 v16, v16, v25
	s_delay_alu instid0(VALU_DEP_3) | instskip(SKIP_1) | instid1(VALU_DEP_2)
	s_or_b32 vcc_lo, s0, vcc_lo
	s_wait_alu 0xfffe
	v_add_co_ci_u32_e32 v19, vcc_lo, 0, v19, vcc_lo
	s_delay_alu instid0(VALU_DEP_2)
	v_cmp_ne_u32_e64 s1, v16, v20
	v_cmp_ne_u32_e32 vcc_lo, 0, v12
	v_lshl_or_b32 v20, v18, 12, v4
	v_and_or_b32 v0, 0x1ff, v1, v0
	s_wait_alu 0xf1ff
	v_cndmask_b32_e64 v16, 0, 1, s1
	s_wait_alu 0xfffd
	v_cndmask_b32_e64 v12, 0, 1, vcc_lo
	v_cmp_gt_i32_e32 vcc_lo, 31, v17
	s_delay_alu instid0(VALU_DEP_3) | instskip(NEXT) | instid1(VALU_DEP_3)
	v_or_b32_e32 v16, v25, v16
	v_lshl_or_b32 v12, v12, 9, 0x7c00
	s_wait_alu 0xfffd
	v_cndmask_b32_e32 v19, 0x7c00, v19, vcc_lo
	v_cmp_gt_i32_e32 vcc_lo, 1, v18
	v_and_or_b32 v2, 0x1ff, v3, v2
	v_bfe_u32 v25, v3, 20, 11
	s_wait_alu 0xfffd
	v_cndmask_b32_e32 v16, v20, v16, vcc_lo
	v_cmp_eq_u32_e32 vcc_lo, 0x40f, v17
	v_lshrrev_b32_e32 v20, 16, v13
	v_lshrrev_b32_e32 v13, 8, v1
	v_bfe_u32 v17, v1, 20, 11
	v_cmp_ne_u32_e64 s1, 0, v2
	s_wait_alu 0xfffd
	v_cndmask_b32_e32 v19, v19, v12, vcc_lo
	v_cmp_ne_u32_e32 vcc_lo, 0, v0
	v_and_b32_e32 v12, 7, v16
	v_add_nc_u32_e32 v31, 0xfffffc10, v17
	s_wait_alu 0xf1ff
	v_cndmask_b32_e64 v2, 0, 1, s1
	v_and_or_b32 v19, 0x8000, v20, v19
	s_wait_alu 0xfffd
	v_cndmask_b32_e64 v0, 0, 1, vcc_lo
	v_cmp_lt_i32_e32 vcc_lo, 5, v12
	v_cmp_eq_u32_e64 s0, 3, v12
	v_lshrrev_b32_e32 v12, 8, v3
	s_delay_alu instid0(VALU_DEP_4) | instskip(SKIP_2) | instid1(VALU_DEP_4)
	v_and_or_b32 v24, 0xffe, v13, v0
	v_sub_nc_u32_e32 v0, 0x3f1, v17
	v_lshrrev_b32_e32 v13, 2, v16
	v_and_or_b32 v2, 0xffe, v12, v2
	v_sub_nc_u32_e32 v12, 0x3f1, v25
	v_or_b32_e32 v16, 0x1000, v24
	v_med3_i32 v0, v0, 0, 13
	s_or_b32 vcc_lo, s0, vcc_lo
	v_or_b32_e32 v27, 0x1000, v2
	s_wait_alu 0xfffe
	v_add_co_ci_u32_e32 v13, vcc_lo, 0, v13, vcc_lo
	v_lshrrev_b32_e32 v26, v0, v16
	v_med3_i32 v28, v12, 0, 13
	v_cmp_gt_i32_e32 vcc_lo, 31, v18
	v_add_nc_u32_e32 v25, 0xfffffc10, v25
	s_delay_alu instid0(VALU_DEP_4) | instskip(NEXT) | instid1(VALU_DEP_4)
	v_lshlrev_b32_e32 v0, v0, v26
	v_lshrrev_b32_e32 v30, v28, v27
	s_wait_alu 0xfffd
	v_cndmask_b32_e32 v29, 0x7c00, v13, vcc_lo
	v_cmp_ne_u32_e32 vcc_lo, 0, v4
	v_mad_co_u64_u32 v[12:13], null, s20, v39, 0
	v_lshlrev_b32_e32 v17, v28, v30
	s_wait_alu 0xfffd
	v_cndmask_b32_e64 v4, 0, 1, vcc_lo
	v_cmp_ne_u32_e32 vcc_lo, v0, v16
	s_delay_alu instid0(VALU_DEP_4) | instskip(NEXT) | instid1(VALU_DEP_3)
	v_mov_b32_e32 v0, v13
	v_lshl_or_b32 v4, v4, 9, 0x7c00
	s_wait_alu 0xfffd
	v_cndmask_b32_e64 v16, 0, 1, vcc_lo
	v_cmp_ne_u32_e32 vcc_lo, v17, v27
	s_delay_alu instid0(VALU_DEP_2)
	v_or_b32_e32 v13, v26, v16
	v_lshl_or_b32 v26, v31, 12, v24
	s_wait_alu 0xfffd
	v_cndmask_b32_e64 v27, 0, 1, vcc_lo
	v_cmp_gt_i32_e32 vcc_lo, 1, v31
	v_mad_co_u64_u32 v[16:17], null, s21, v39, v[0:1]
	v_lshl_or_b32 v17, v25, 12, v2
	v_lshrrev_b32_e32 v1, 16, v1
	s_wait_alu 0xfffd
	v_cndmask_b32_e32 v0, v26, v13, vcc_lo
	v_cmp_eq_u32_e32 vcc_lo, 0x40f, v18
	v_or_b32_e32 v13, v30, v27
	s_delay_alu instid0(VALU_DEP_3)
	v_and_b32_e32 v18, 7, v0
	s_wait_alu 0xfffd
	v_cndmask_b32_e32 v4, v29, v4, vcc_lo
	v_cmp_gt_i32_e32 vcc_lo, 1, v25
	v_lshrrev_b32_e32 v0, 2, v0
	v_cmp_eq_u32_e64 s0, 3, v18
	s_delay_alu instid0(VALU_DEP_4) | instskip(SKIP_4) | instid1(VALU_DEP_3)
	v_and_or_b32 v4, 0x8000, v5, v4
	s_wait_alu 0xfffd
	v_cndmask_b32_e32 v17, v17, v13, vcc_lo
	v_cmp_lt_i32_e32 vcc_lo, 5, v18
	v_dual_mov_b32 v13, v16 :: v_dual_and_b32 v16, 0xffff, v19
	v_and_b32_e32 v5, 7, v17
	s_or_b32 vcc_lo, s0, vcc_lo
	s_wait_alu 0xfffe
	v_add_co_ci_u32_e32 v0, vcc_lo, 0, v0, vcc_lo
	s_delay_alu instid0(VALU_DEP_2)
	v_cmp_lt_i32_e64 s1, 5, v5
	v_cmp_eq_u32_e64 s2, 3, v5
	v_cmp_ne_u32_e32 vcc_lo, 0, v24
	v_lshrrev_b32_e32 v5, 2, v17
	v_lshl_or_b32 v4, v4, 16, v16
	v_lshrrev_b32_e32 v16, 16, v3
	s_wait_alu 0xfffd
	v_cndmask_b32_e64 v17, 0, 1, vcc_lo
	s_or_b32 vcc_lo, s2, s1
	s_wait_alu 0xfffe
	v_add_co_ci_u32_e32 v5, vcc_lo, 0, v5, vcc_lo
	v_cmp_ne_u32_e32 vcc_lo, 0, v2
	v_lshl_or_b32 v17, v17, 9, 0x7c00
	s_wait_alu 0xfffd
	v_cndmask_b32_e64 v2, 0, 1, vcc_lo
	v_cmp_gt_i32_e32 vcc_lo, 31, v31
	s_delay_alu instid0(VALU_DEP_2)
	v_lshl_or_b32 v2, v2, 9, 0x7c00
	s_wait_alu 0xfffd
	v_cndmask_b32_e32 v0, 0x7c00, v0, vcc_lo
	v_cmp_gt_i32_e32 vcc_lo, 31, v25
	s_wait_alu 0xfffd
	v_cndmask_b32_e32 v5, 0x7c00, v5, vcc_lo
	v_cmp_eq_u32_e32 vcc_lo, 0x40f, v31
	s_wait_alu 0xfffd
	v_cndmask_b32_e32 v0, v0, v17, vcc_lo
	v_cmp_eq_u32_e32 vcc_lo, 0x40f, v25
	s_delay_alu instid0(VALU_DEP_2)
	v_and_or_b32 v17, 0x8000, v1, v0
	s_wait_alu 0xfffd
	v_cndmask_b32_e32 v5, v5, v2, vcc_lo
	v_lshlrev_b64_e32 v[0:1], 2, v[12:13]
	v_mad_co_u64_u32 v[2:3], null, 0x300, s20, v[14:15]
	v_and_b32_e32 v12, 0xffff, v17
	s_delay_alu instid0(VALU_DEP_4) | instskip(NEXT) | instid1(VALU_DEP_4)
	v_and_or_b32 v5, 0x8000, v16, v5
	v_add_co_u32 v0, vcc_lo, v8, v0
	s_wait_alu 0xfffd
	v_add_co_ci_u32_e32 v1, vcc_lo, v9, v1, vcc_lo
	s_delay_alu instid0(VALU_DEP_3)
	v_lshl_or_b32 v5, v5, 16, v12
	v_add_nc_u32_e32 v3, s3, v3
	global_store_b32 v[6:7], v22, off
	global_store_b32 v[10:11], v23, off
	;; [unrolled: 1-line block ×5, first 2 shown]
	global_load_b32 v4, v38, s[24:25] offset:5376
	v_add_nc_u32_e32 v0, 0x1400, v38
	ds_load_2addr_b32 v[0:1], v0 offset0:64 offset1:160
	s_wait_dscnt 0x0
	v_lshrrev_b32_e32 v5, 16, v0
	s_wait_loadcnt 0x0
	v_lshrrev_b32_e32 v6, 16, v4
	s_delay_alu instid0(VALU_DEP_1) | instskip(SKIP_1) | instid1(VALU_DEP_2)
	v_mul_f16_e32 v7, v5, v6
	v_mul_f16_e32 v6, v0, v6
	v_fmac_f16_e32 v7, v0, v4
	s_delay_alu instid0(VALU_DEP_2) | instskip(NEXT) | instid1(VALU_DEP_2)
	v_fma_f16 v0, v4, v5, -v6
	v_cvt_f32_f16_e32 v4, v7
	s_delay_alu instid0(VALU_DEP_2) | instskip(NEXT) | instid1(VALU_DEP_2)
	v_cvt_f32_f16_e32 v0, v0
	v_cvt_f64_f32_e32 v[4:5], v4
	s_delay_alu instid0(VALU_DEP_2) | instskip(NEXT) | instid1(VALU_DEP_2)
	v_cvt_f64_f32_e32 v[6:7], v0
	v_mul_f64_e32 v[4:5], s[28:29], v[4:5]
	s_delay_alu instid0(VALU_DEP_2) | instskip(NEXT) | instid1(VALU_DEP_2)
	v_mul_f64_e32 v[6:7], s[28:29], v[6:7]
	v_and_or_b32 v0, 0x1ff, v5, v4
	s_delay_alu instid0(VALU_DEP_2)
	v_and_or_b32 v4, 0x1ff, v7, v6
	v_lshrrev_b32_e32 v6, 8, v5
	v_bfe_u32 v8, v5, 20, 11
	v_lshrrev_b32_e32 v9, 8, v7
	v_cmp_ne_u32_e32 vcc_lo, 0, v0
	v_bfe_u32 v10, v7, 20, 11
	v_lshrrev_b32_e32 v5, 16, v5
	s_wait_alu 0xfffd
	v_cndmask_b32_e64 v0, 0, 1, vcc_lo
	v_cmp_ne_u32_e32 vcc_lo, 0, v4
	s_delay_alu instid0(VALU_DEP_2)
	v_and_or_b32 v0, 0xffe, v6, v0
	s_wait_alu 0xfffd
	v_cndmask_b32_e64 v4, 0, 1, vcc_lo
	v_sub_nc_u32_e32 v6, 0x3f1, v8
	v_add_nc_u32_e32 v8, 0xfffffc10, v8
	v_or_b32_e32 v11, 0x1000, v0
	s_delay_alu instid0(VALU_DEP_4) | instskip(SKIP_3) | instid1(VALU_DEP_4)
	v_and_or_b32 v4, 0xffe, v9, v4
	v_sub_nc_u32_e32 v9, 0x3f1, v10
	v_med3_i32 v6, v6, 0, 13
	v_add_nc_u32_e32 v10, 0xfffffc10, v10
	v_or_b32_e32 v12, 0x1000, v4
	s_delay_alu instid0(VALU_DEP_4) | instskip(NEXT) | instid1(VALU_DEP_4)
	v_med3_i32 v9, v9, 0, 13
	v_lshrrev_b32_e32 v13, v6, v11
	s_delay_alu instid0(VALU_DEP_2) | instskip(NEXT) | instid1(VALU_DEP_2)
	v_lshrrev_b32_e32 v14, v9, v12
	v_lshlrev_b32_e32 v6, v6, v13
	s_delay_alu instid0(VALU_DEP_2) | instskip(NEXT) | instid1(VALU_DEP_2)
	v_lshlrev_b32_e32 v9, v9, v14
	v_cmp_ne_u32_e32 vcc_lo, v6, v11
	v_lshl_or_b32 v11, v8, 12, v0
	s_wait_alu 0xfffd
	v_cndmask_b32_e64 v6, 0, 1, vcc_lo
	v_cmp_ne_u32_e32 vcc_lo, v9, v12
	v_lshl_or_b32 v12, v10, 12, v4
	s_delay_alu instid0(VALU_DEP_3) | instskip(SKIP_3) | instid1(VALU_DEP_2)
	v_or_b32_e32 v6, v13, v6
	s_wait_alu 0xfffd
	v_cndmask_b32_e64 v9, 0, 1, vcc_lo
	v_cmp_gt_i32_e32 vcc_lo, 1, v8
	v_or_b32_e32 v9, v14, v9
	s_wait_alu 0xfffd
	v_cndmask_b32_e32 v6, v11, v6, vcc_lo
	v_cmp_gt_i32_e32 vcc_lo, 1, v10
	s_delay_alu instid0(VALU_DEP_2) | instskip(SKIP_3) | instid1(VALU_DEP_3)
	v_and_b32_e32 v11, 7, v6
	s_wait_alu 0xfffd
	v_cndmask_b32_e32 v9, v12, v9, vcc_lo
	v_lshrrev_b32_e32 v6, 2, v6
	v_cmp_lt_i32_e32 vcc_lo, 5, v11
	v_cmp_eq_u32_e64 s0, 3, v11
	s_delay_alu instid0(VALU_DEP_4) | instskip(SKIP_1) | instid1(VALU_DEP_3)
	v_and_b32_e32 v12, 7, v9
	v_lshrrev_b32_e32 v9, 2, v9
	s_or_b32 vcc_lo, s0, vcc_lo
	s_delay_alu instid0(VALU_DEP_2)
	v_cmp_lt_i32_e64 s1, 5, v12
	s_wait_alu 0xfffe
	v_add_co_ci_u32_e32 v6, vcc_lo, 0, v6, vcc_lo
	v_cmp_eq_u32_e64 s2, 3, v12
	v_cmp_ne_u32_e32 vcc_lo, 0, v0
	s_wait_alu 0xfffd
	v_cndmask_b32_e64 v0, 0, 1, vcc_lo
	s_delay_alu instid0(VALU_DEP_3)
	s_or_b32 vcc_lo, s2, s1
	s_wait_alu 0xfffe
	v_add_co_ci_u32_e32 v9, vcc_lo, 0, v9, vcc_lo
	v_cmp_ne_u32_e32 vcc_lo, 0, v4
	v_lshl_or_b32 v0, v0, 9, 0x7c00
	s_wait_alu 0xfffd
	v_cndmask_b32_e64 v4, 0, 1, vcc_lo
	v_cmp_gt_i32_e32 vcc_lo, 31, v8
	s_delay_alu instid0(VALU_DEP_2)
	v_lshl_or_b32 v4, v4, 9, 0x7c00
	s_wait_alu 0xfffd
	v_cndmask_b32_e32 v6, 0x7c00, v6, vcc_lo
	v_cmp_gt_i32_e32 vcc_lo, 31, v10
	s_wait_alu 0xfffd
	v_cndmask_b32_e32 v9, 0x7c00, v9, vcc_lo
	v_cmp_eq_u32_e32 vcc_lo, 0x40f, v8
	s_wait_alu 0xfffd
	v_cndmask_b32_e32 v0, v6, v0, vcc_lo
	v_cmp_eq_u32_e32 vcc_lo, 0x40f, v10
	v_lshrrev_b32_e32 v6, 16, v7
	s_delay_alu instid0(VALU_DEP_3)
	v_and_or_b32 v0, 0x8000, v5, v0
	s_wait_alu 0xfffd
	v_cndmask_b32_e32 v4, v9, v4, vcc_lo
	v_add_co_u32 v2, vcc_lo, v2, s26
	s_wait_alu 0xfffd
	v_add_co_ci_u32_e32 v3, vcc_lo, s27, v3, vcc_lo
	s_delay_alu instid0(VALU_DEP_3) | instskip(SKIP_1) | instid1(VALU_DEP_1)
	v_and_or_b32 v4, 0x8000, v6, v4
	v_and_b32_e32 v0, 0xffff, v0
	v_lshl_or_b32 v0, v4, 16, v0
	v_lshrrev_b32_e32 v4, 16, v1
	global_store_b32 v[2:3], v0, off
	global_load_b32 v0, v38, s[24:25] offset:5760
	s_wait_loadcnt 0x0
	v_lshrrev_b32_e32 v5, 16, v0
	s_delay_alu instid0(VALU_DEP_1) | instskip(SKIP_1) | instid1(VALU_DEP_2)
	v_mul_f16_e32 v6, v4, v5
	v_mul_f16_e32 v5, v1, v5
	v_fmac_f16_e32 v6, v1, v0
	s_delay_alu instid0(VALU_DEP_2) | instskip(NEXT) | instid1(VALU_DEP_2)
	v_fma_f16 v0, v0, v4, -v5
	v_cvt_f32_f16_e32 v1, v6
	s_delay_alu instid0(VALU_DEP_2) | instskip(NEXT) | instid1(VALU_DEP_2)
	v_cvt_f32_f16_e32 v4, v0
	v_cvt_f64_f32_e32 v[0:1], v1
	s_delay_alu instid0(VALU_DEP_2) | instskip(NEXT) | instid1(VALU_DEP_2)
	v_cvt_f64_f32_e32 v[4:5], v4
	v_mul_f64_e32 v[0:1], s[28:29], v[0:1]
	s_delay_alu instid0(VALU_DEP_2) | instskip(NEXT) | instid1(VALU_DEP_2)
	v_mul_f64_e32 v[4:5], s[28:29], v[4:5]
	v_and_or_b32 v0, 0x1ff, v1, v0
	s_delay_alu instid0(VALU_DEP_2)
	v_and_or_b32 v4, 0x1ff, v5, v4
	v_lshrrev_b32_e32 v6, 8, v1
	v_bfe_u32 v7, v1, 20, 11
	v_lshrrev_b32_e32 v8, 8, v5
	v_cmp_ne_u32_e32 vcc_lo, 0, v0
	v_bfe_u32 v9, v5, 20, 11
	v_lshrrev_b32_e32 v1, 16, v1
	v_sub_nc_u32_e32 v10, 0x3f1, v7
	v_add_nc_u32_e32 v7, 0xfffffc10, v7
	s_wait_alu 0xfffd
	v_cndmask_b32_e64 v0, 0, 1, vcc_lo
	v_cmp_ne_u32_e32 vcc_lo, 0, v4
	v_lshrrev_b32_e32 v5, 16, v5
	s_delay_alu instid0(VALU_DEP_3) | instskip(SKIP_4) | instid1(VALU_DEP_3)
	v_and_or_b32 v0, 0xffe, v6, v0
	s_wait_alu 0xfffd
	v_cndmask_b32_e64 v4, 0, 1, vcc_lo
	v_sub_nc_u32_e32 v6, 0x3f1, v9
	v_add_nc_u32_e32 v9, 0xfffffc10, v9
	v_and_or_b32 v4, 0xffe, v8, v4
	v_med3_i32 v8, v10, 0, 13
	v_or_b32_e32 v10, 0x1000, v0
	v_med3_i32 v6, v6, 0, 13
	s_delay_alu instid0(VALU_DEP_4) | instskip(NEXT) | instid1(VALU_DEP_3)
	v_or_b32_e32 v11, 0x1000, v4
	v_lshrrev_b32_e32 v12, v8, v10
	s_delay_alu instid0(VALU_DEP_2) | instskip(NEXT) | instid1(VALU_DEP_2)
	v_lshrrev_b32_e32 v13, v6, v11
	v_lshlrev_b32_e32 v8, v8, v12
	s_delay_alu instid0(VALU_DEP_2) | instskip(NEXT) | instid1(VALU_DEP_2)
	v_lshlrev_b32_e32 v6, v6, v13
	v_cmp_ne_u32_e32 vcc_lo, v8, v10
	v_lshl_or_b32 v10, v7, 12, v0
	s_wait_alu 0xfffd
	v_cndmask_b32_e64 v8, 0, 1, vcc_lo
	v_cmp_ne_u32_e32 vcc_lo, v6, v11
	v_lshl_or_b32 v11, v9, 12, v4
	s_delay_alu instid0(VALU_DEP_3) | instskip(SKIP_3) | instid1(VALU_DEP_2)
	v_or_b32_e32 v8, v12, v8
	s_wait_alu 0xfffd
	v_cndmask_b32_e64 v6, 0, 1, vcc_lo
	v_cmp_gt_i32_e32 vcc_lo, 1, v7
	v_or_b32_e32 v6, v13, v6
	s_wait_alu 0xfffd
	v_cndmask_b32_e32 v8, v10, v8, vcc_lo
	v_cmp_gt_i32_e32 vcc_lo, 1, v9
	s_delay_alu instid0(VALU_DEP_2)
	v_and_b32_e32 v10, 7, v8
	s_wait_alu 0xfffd
	v_cndmask_b32_e32 v6, v11, v6, vcc_lo
	v_cmp_ne_u32_e32 vcc_lo, 0, v0
	v_lshrrev_b32_e32 v8, 2, v8
	v_cmp_eq_u32_e64 s0, 3, v10
	s_delay_alu instid0(VALU_DEP_4)
	v_and_b32_e32 v11, 7, v6
	s_wait_alu 0xfffd
	v_cndmask_b32_e64 v0, 0, 1, vcc_lo
	v_cmp_ne_u32_e32 vcc_lo, 0, v4
	v_lshrrev_b32_e32 v6, 2, v6
	v_cmp_lt_i32_e64 s1, 5, v11
	v_cmp_eq_u32_e64 s2, 3, v11
	s_wait_alu 0xfffd
	v_cndmask_b32_e64 v4, 0, 1, vcc_lo
	v_cmp_lt_i32_e32 vcc_lo, 5, v10
	v_lshl_or_b32 v0, v0, 9, 0x7c00
	s_delay_alu instid0(VALU_DEP_3)
	v_lshl_or_b32 v4, v4, 9, 0x7c00
	s_or_b32 vcc_lo, s0, vcc_lo
	s_wait_alu 0xfffe
	v_add_co_ci_u32_e32 v8, vcc_lo, 0, v8, vcc_lo
	s_or_b32 vcc_lo, s2, s1
	s_wait_alu 0xfffe
	v_add_co_ci_u32_e32 v6, vcc_lo, 0, v6, vcc_lo
	v_cmp_gt_i32_e32 vcc_lo, 31, v7
	s_wait_alu 0xfffd
	v_cndmask_b32_e32 v8, 0x7c00, v8, vcc_lo
	v_cmp_gt_i32_e32 vcc_lo, 31, v9
	s_wait_alu 0xfffd
	v_cndmask_b32_e32 v6, 0x7c00, v6, vcc_lo
	v_cmp_eq_u32_e32 vcc_lo, 0x40f, v7
	s_wait_alu 0xfffd
	v_cndmask_b32_e32 v0, v8, v0, vcc_lo
	v_cmp_eq_u32_e32 vcc_lo, 0x40f, v9
	s_delay_alu instid0(VALU_DEP_2) | instskip(SKIP_2) | instid1(VALU_DEP_2)
	v_and_or_b32 v0, 0x8000, v1, v0
	s_wait_alu 0xfffd
	v_cndmask_b32_e32 v4, v6, v4, vcc_lo
	v_and_b32_e32 v0, 0xffff, v0
	s_delay_alu instid0(VALU_DEP_2) | instskip(NEXT) | instid1(VALU_DEP_1)
	v_and_or_b32 v1, 0x8000, v5, v4
	v_lshl_or_b32 v4, v1, 16, v0
	v_add_co_u32 v0, vcc_lo, v2, s26
	s_wait_alu 0xfffd
	v_add_co_ci_u32_e32 v1, vcc_lo, s27, v3, vcc_lo
	global_store_b32 v[0:1], v4, off
.LBB0_23:
	s_nop 0
	s_sendmsg sendmsg(MSG_DEALLOC_VGPRS)
	s_endpgm
	.section	.rodata,"a",@progbits
	.p2align	6, 0x0
	.amdhsa_kernel bluestein_single_back_len1536_dim1_half_op_CI_CI
		.amdhsa_group_segment_fixed_size 6144
		.amdhsa_private_segment_fixed_size 0
		.amdhsa_kernarg_size 104
		.amdhsa_user_sgpr_count 2
		.amdhsa_user_sgpr_dispatch_ptr 0
		.amdhsa_user_sgpr_queue_ptr 0
		.amdhsa_user_sgpr_kernarg_segment_ptr 1
		.amdhsa_user_sgpr_dispatch_id 0
		.amdhsa_user_sgpr_private_segment_size 0
		.amdhsa_wavefront_size32 1
		.amdhsa_uses_dynamic_stack 0
		.amdhsa_enable_private_segment 0
		.amdhsa_system_sgpr_workgroup_id_x 1
		.amdhsa_system_sgpr_workgroup_id_y 0
		.amdhsa_system_sgpr_workgroup_id_z 0
		.amdhsa_system_sgpr_workgroup_info 0
		.amdhsa_system_vgpr_workitem_id 0
		.amdhsa_next_free_vgpr 167
		.amdhsa_next_free_sgpr 30
		.amdhsa_reserve_vcc 1
		.amdhsa_float_round_mode_32 0
		.amdhsa_float_round_mode_16_64 0
		.amdhsa_float_denorm_mode_32 3
		.amdhsa_float_denorm_mode_16_64 3
		.amdhsa_fp16_overflow 0
		.amdhsa_workgroup_processor_mode 1
		.amdhsa_memory_ordered 1
		.amdhsa_forward_progress 0
		.amdhsa_round_robin_scheduling 0
		.amdhsa_exception_fp_ieee_invalid_op 0
		.amdhsa_exception_fp_denorm_src 0
		.amdhsa_exception_fp_ieee_div_zero 0
		.amdhsa_exception_fp_ieee_overflow 0
		.amdhsa_exception_fp_ieee_underflow 0
		.amdhsa_exception_fp_ieee_inexact 0
		.amdhsa_exception_int_div_zero 0
	.end_amdhsa_kernel
	.text
.Lfunc_end0:
	.size	bluestein_single_back_len1536_dim1_half_op_CI_CI, .Lfunc_end0-bluestein_single_back_len1536_dim1_half_op_CI_CI
                                        ; -- End function
	.section	.AMDGPU.csdata,"",@progbits
; Kernel info:
; codeLenInByte = 21456
; NumSgprs: 32
; NumVgprs: 167
; ScratchSize: 0
; MemoryBound: 0
; FloatMode: 240
; IeeeMode: 1
; LDSByteSize: 6144 bytes/workgroup (compile time only)
; SGPRBlocks: 3
; VGPRBlocks: 20
; NumSGPRsForWavesPerEU: 32
; NumVGPRsForWavesPerEU: 167
; Occupancy: 9
; WaveLimiterHint : 1
; COMPUTE_PGM_RSRC2:SCRATCH_EN: 0
; COMPUTE_PGM_RSRC2:USER_SGPR: 2
; COMPUTE_PGM_RSRC2:TRAP_HANDLER: 0
; COMPUTE_PGM_RSRC2:TGID_X_EN: 1
; COMPUTE_PGM_RSRC2:TGID_Y_EN: 0
; COMPUTE_PGM_RSRC2:TGID_Z_EN: 0
; COMPUTE_PGM_RSRC2:TIDIG_COMP_CNT: 0
	.text
	.p2alignl 7, 3214868480
	.fill 96, 4, 3214868480
	.type	__hip_cuid_3a45abeba7cc5aa,@object ; @__hip_cuid_3a45abeba7cc5aa
	.section	.bss,"aw",@nobits
	.globl	__hip_cuid_3a45abeba7cc5aa
__hip_cuid_3a45abeba7cc5aa:
	.byte	0                               ; 0x0
	.size	__hip_cuid_3a45abeba7cc5aa, 1

	.ident	"AMD clang version 19.0.0git (https://github.com/RadeonOpenCompute/llvm-project roc-6.4.0 25133 c7fe45cf4b819c5991fe208aaa96edf142730f1d)"
	.section	".note.GNU-stack","",@progbits
	.addrsig
	.addrsig_sym __hip_cuid_3a45abeba7cc5aa
	.amdgpu_metadata
---
amdhsa.kernels:
  - .args:
      - .actual_access:  read_only
        .address_space:  global
        .offset:         0
        .size:           8
        .value_kind:     global_buffer
      - .actual_access:  read_only
        .address_space:  global
        .offset:         8
        .size:           8
        .value_kind:     global_buffer
      - .actual_access:  read_only
        .address_space:  global
        .offset:         16
        .size:           8
        .value_kind:     global_buffer
      - .actual_access:  read_only
        .address_space:  global
        .offset:         24
        .size:           8
        .value_kind:     global_buffer
      - .actual_access:  read_only
        .address_space:  global
        .offset:         32
        .size:           8
        .value_kind:     global_buffer
      - .offset:         40
        .size:           8
        .value_kind:     by_value
      - .address_space:  global
        .offset:         48
        .size:           8
        .value_kind:     global_buffer
      - .address_space:  global
        .offset:         56
        .size:           8
        .value_kind:     global_buffer
      - .address_space:  global
        .offset:         64
        .size:           8
        .value_kind:     global_buffer
      - .address_space:  global
        .offset:         72
        .size:           8
        .value_kind:     global_buffer
      - .offset:         80
        .size:           4
        .value_kind:     by_value
      - .address_space:  global
        .offset:         88
        .size:           8
        .value_kind:     global_buffer
      - .address_space:  global
        .offset:         96
        .size:           8
        .value_kind:     global_buffer
    .group_segment_fixed_size: 6144
    .kernarg_segment_align: 8
    .kernarg_segment_size: 104
    .language:       OpenCL C
    .language_version:
      - 2
      - 0
    .max_flat_workgroup_size: 256
    .name:           bluestein_single_back_len1536_dim1_half_op_CI_CI
    .private_segment_fixed_size: 0
    .sgpr_count:     32
    .sgpr_spill_count: 0
    .symbol:         bluestein_single_back_len1536_dim1_half_op_CI_CI.kd
    .uniform_work_group_size: 1
    .uses_dynamic_stack: false
    .vgpr_count:     167
    .vgpr_spill_count: 0
    .wavefront_size: 32
    .workgroup_processor_mode: 1
amdhsa.target:   amdgcn-amd-amdhsa--gfx1201
amdhsa.version:
  - 1
  - 2
...

	.end_amdgpu_metadata
